;; amdgpu-corpus repo=ROCm/aiter kind=harvested arch=n/a opt=n/a

/root/src/amdgpu-assembly/repos/ROCm__aiter/hsa/gfx950/mla/mla_a8w8_qh16_qseqlen1_gqaratio16.co:	file format elf64-amdgpu

Disassembly of section .text:

0000000000002300 <_ZN5aiter33mla_a8w8_qh16_qseqlen1_gqaratio16E>:
	s_and_b32 s1, s1, 0xffff                                   // 000000002300: 8601FF01 0000FFFF
	s_load_dwordx2 s[8:9], s[0:1], 0x0                         // 000000002308: C0060200 00000000
	s_load_dwordx2 s[12:13], s[0:1], 0x10                      // 000000002310: C0060300 00000010
	s_load_dwordx2 s[16:17], s[0:1], 0x20                      // 000000002318: C0060400 00000020
	s_load_dwordx2 s[20:21], s[0:1], 0x30                      // 000000002320: C0060500 00000030
	s_load_dwordx2 s[28:29], s[0:1], 0x40                      // 000000002328: C0060700 00000040
	s_load_dwordx2 s[24:25], s[0:1], 0x50                      // 000000002330: C0060600 00000050
	s_load_dwordx2 s[30:31], s[0:1], 0x60                      // 000000002338: C0060780 00000060
	s_load_dword s64, s[0:1], 0x70                             // 000000002340: C0021000 00000070
	s_load_dword s65, s[0:1], 0x80                             // 000000002348: C0021040 00000080
	s_load_dword s92, s[0:1], 0x90                             // 000000002350: C0021700 00000090
	s_load_dword s66, s[0:1], 0xa0                             // 000000002358: C0021080 000000A0
	s_load_dword s68, s[0:1], 0xb0                             // 000000002360: C0021100 000000B0
	s_load_dword s69, s[0:1], 0xc0                             // 000000002368: C0021140 000000C0
	s_load_dwordx2 s[32:33], s[0:1], 0xd0                      // 000000002370: C0060800 000000D0
	s_load_dwordx2 s[88:89], s[0:1], 0xe0                      // 000000002378: C0061600 000000E0
	s_load_dword s62, s[0:1], 0xf0                             // 000000002380: C0020F80 000000F0
	s_load_dwordx2 s[40:41], s[0:1], 0x100                     // 000000002388: C0060A00 00000100
	s_load_dwordx2 s[42:43], s[0:1], 0x110                     // 000000002390: C0060A80 00000110
	v_lshrrev_b32_e32 v1, 10, v0                               // 000000002398: 2002008A
	v_lshrrev_b32_e32 v2, 10, v1                               // 00000000239C: 2004028A
	v_and_b32_e32 v2, 0x3ff, v2                                // 0000000023A0: 260404FF 000003FF
	v_and_b32_e32 v1, 0x3ff, v1                                // 0000000023A8: 260202FF 000003FF
	v_and_b32_e32 v0, 0x3ff, v0                                // 0000000023B0: 260000FF 000003FF
	v_lshrrev_b32_e32 v3, 6, v0                                // 0000000023B8: 20060086
	v_and_b32_e32 v0, 63, v0                                   // 0000000023BC: 260000BF
	s_mov_b32 s2, s2                                           // 0000000023C0: BE820002
	s_mov_b32 s3, s3                                           // 0000000023C4: BE830003
	s_mov_b32 s4, s4                                           // 0000000023C8: BE840004
	v_readfirstlane_b32 s6, v3                                 // 0000000023CC: 7E0C0503
	s_waitcnt lgkmcnt(0)                                       // 0000000023D0: BF8CC07F
	s_min_u32 s76, 16, s65                                     // 0000000023D4: 83CC4190
	s_mul_i32 s58, s3, 4                                       // 0000000023D8: 923A8403
	s_and_b32 s29, s29, 0xffff                                 // 0000000023DC: 861DFF1D 0000FFFF
	s_and_b32 s31, s31, 0xffff                                 // 0000000023E4: 861FFF1F 0000FFFF
	s_add_u32 s28, s58, s28                                    // 0000000023EC: 801C1C3A
	s_addc_u32 s29, 0, s29                                     // 0000000023F0: 821D1D80
	s_load_dword s47, s[28:29], 0x0                            // 0000000023F4: C0020BCE 00000000
	s_load_dword s46, s[28:29], 0x4                            // 0000000023FC: C0020B8E 00000004
	s_mul_i32 s58, s3, 4                                       // 000000002404: 923A8403
	s_and_b32 s89, s89, 0xffff                                 // 000000002408: 8659FF59 0000FFFF
	s_add_u32 s88, s58, s88                                    // 000000002410: 8058583A
	s_addc_u32 s89, 0, s89                                     // 000000002414: 82595980
	s_load_dword s86, s[88:89], 0x0                            // 000000002418: C00215AC 00000000
	s_load_dword s85, s[88:89], 0x4                            // 000000002420: C002156C 00000004
	s_and_b32 s33, s33, 0xffff                                 // 000000002428: 8621FF21 0000FFFF
	s_add_u32 s32, s58, s32                                    // 000000002430: 8020203A
	s_addc_u32 s33, 0, s33                                     // 000000002434: 82212180
	s_load_dword s79, s[32:33], 0x0                            // 000000002438: C00213D0 00000000
	s_load_dword s78, s[32:33], 0x4                            // 000000002440: C0021390 00000004
	s_waitcnt lgkmcnt(0)                                       // 000000002448: BF8CC07F
	s_sub_u32 s87, s85, s86                                    // 00000000244C: 80D75655
	s_cmp_le_u32 s87, s4                                       // 000000002450: BF0B0457
	s_cbranch_scc1 label_4498                                  // 000000002454: BF8510AE
	s_mov_b32 s67, s87                                         // 000000002458: BEC30057
	s_sub_u32 s81, s78, s79                                    // 00000000245C: 80D14F4E
	s_mul_i32 s58, 0x800, s65                                  // 000000002460: 923A41FF 00000800
	s_mul_i32 s59, 0x400, s65                                  // 000000002468: 923B41FF 00000400
	s_cmp_eq_u32 s67, 1                                        // 000000002470: BF068143
	s_cselect_b32 s75, s59, s58                                // 000000002474: 854B3A3B
	s_mul_i32 s74, 0x240, s65                                  // 000000002478: 924A41FF 00000240
	s_mul_i32 s58, 4, s65                                      // 000000002480: 923A4184
	s_mov_b32 s10, s75                                         // 000000002484: BE8A004B
	s_mov_b32 s18, s74                                         // 000000002488: BE92004A
	s_mov_b32 s14, s58                                         // 00000000248C: BE8E003A
	s_mov_b32 s26, -16                                         // 000000002490: BE9A00D0
	s_mov_b32 s11, 0x20000                                     // 000000002494: BE8B00FF 00020000
	s_mov_b32 s19, 0x20000                                     // 00000000249C: BE9300FF 00020000
	s_mov_b32 s15, 0x20000                                     // 0000000024A4: BE8F00FF 00020000
	s_mov_b32 s27, 0x20000                                     // 0000000024AC: BE9B00FF 00020000
	s_and_b32 s9, s9, 0xffff                                   // 0000000024B4: 8609FF09 0000FFFF
	s_and_b32 s17, s17, 0xffff                                 // 0000000024BC: 8611FF11 0000FFFF
	s_and_b32 s13, s13, 0xffff                                 // 0000000024C4: 860DFF0D 0000FFFF
	s_and_b32 s25, s25, 0xffff                                 // 0000000024CC: 8619FF19 0000FFFF
	s_and_b32 s41, s41, 0xffff                                 // 0000000024D4: 8629FF29 0000FFFF
	s_and_b32 s43, s43, 0xffff                                 // 0000000024DC: 862BFF2B 0000FFFF
	s_or_b32 s9, s9, 0x40000                                   // 0000000024E4: 8709FF09 00040000
	s_or_b32 s17, s17, 0x40000                                 // 0000000024EC: 8711FF11 00040000
	s_or_b32 s13, s13, 0x40000                                 // 0000000024F4: 870DFF0D 00040000
	s_or_b32 s25, s25, 0x40000                                 // 0000000024FC: 8719FF19 00040000
	v_mov_b32_e32 v215, s21                                    // 000000002504: 7FAE0215
	v_and_b32_e32 v215, 0xffff, v215                           // 000000002508: 27AFAEFF 0000FFFF
	s_waitcnt lgkmcnt(0)                                       // 000000002510: BF8CC07F
	s_load_dword s60, s[40:41], 0x0                            // 000000002514: C0020F14 00000000
	s_load_dword s61, s[42:43], 0x0                            // 00000000251C: C0020F55 00000000
	s_mov_b32 s69, 0                                           // 000000002524: BEC50080
	s_lshr_b32 s44, 0x80, s69                                  // 000000002528: 8F2C45FF 00000080
	s_mul_i32 s73, s44, 4                                      // 000000002530: 9249842C
	s_mul_i32 s73, s73, s67                                    // 000000002534: 92494349
	s_mul_i32 s45, s4, s44                                     // 000000002538: 922D2C04
	s_sub_u32 s50, s46, s47                                    // 00000000253C: 80B22F2E
	s_cmp_le_u32 s50, s45                                      // 000000002540: BF0B2D32
	s_cbranch_scc1 label_4498                                  // 000000002544: BF851072
	s_mul_i32 s58, s50, 4                                      // 000000002548: 923A8432
	s_mov_b32 s26, s58                                         // 00000000254C: BE9A003A
	s_mul_i32 s58, s47, 4                                      // 000000002550: 923A842F
	s_add_u32 s24, s58, s24                                    // 000000002554: 8018183A
	s_addc_u32 s25, 0, s25                                     // 000000002558: 82191980
	s_mov_b32 s70, 0                                           // 00000000255C: BEC60080
	s_sub_u32 s71, s50, s45                                    // 000000002560: 80C72D32
	s_mul_i32 s37, s67, s44                                    // 000000002564: 92252C43
	s_mov_b32 s36, s71                                         // 000000002568: BEA40047
	v_cvt_f32_u32_e32 v28, s37                                 // 00000000256C: 7E380C25
	s_sub_i32 s58, 0, s37                                      // 000000002570: 81BA2580
	v_rcp_iflag_f32_e32 v28, v28                               // 000000002574: 7E38471C
	s_nop 0                                                    // 000000002578: BF800000
	v_mul_f32_e32 v28, 0x4f7ffffe, v28                         // 00000000257C: 0A3838FF 4F7FFFFE
	v_cvt_u32_f32_e32 v28, v28                                 // 000000002584: 7E380F1C
	v_mul_lo_u32 v29, s58, v28                                 // 000000002588: D285001D 0002383A
	v_mul_hi_u32 v29, v28, v29                                 // 000000002590: D286001D 00023B1C
	v_add_u32_e32 v28, v28, v29                                // 000000002598: 68383B1C
	v_mul_hi_u32 v28, s36, v28                                 // 00000000259C: D286001C 00023824
	v_mul_lo_u32 v29, v28, s37                                 // 0000000025A4: D285001D 00004B1C
	v_sub_u32_e32 v31, s36, v29                                // 0000000025AC: 6A3E3A24
	v_add_u32_e32 v30, 1, v28                                  // 0000000025B0: 683C3881
	v_cmp_le_u32_e32 vcc, s37, v31                             // 0000000025B4: 7D963E25
	v_subrev_u32_e32 v29, s37, v31                             // 0000000025B8: 6C3A3E25
	s_nop 0                                                    // 0000000025BC: BF800000
	v_cndmask_b32_e32 v28, v28, v30, vcc                       // 0000000025C0: 00383D1C
	v_cndmask_b32_e32 v31, v31, v29, vcc                       // 0000000025C4: 003E3B1F
	v_add_u32_e32 v29, 1, v28                                  // 0000000025C8: 683A3881
	v_cmp_le_u32_e32 vcc, s37, v31                             // 0000000025CC: 7D963E25
	s_nop 1                                                    // 0000000025D0: BF800001
	v_cndmask_b32_e32 v31, v28, v29, vcc                       // 0000000025D4: 003E3B1C
	s_nop 3                                                    // 0000000025D8: BF800003
	v_readfirstlane_b32 s38, v31                               // 0000000025DC: 7E4C051F
	s_nop 3                                                    // 0000000025E0: BF800003
	s_mov_b32 s71, s38                                         // 0000000025E4: BEC70026
	s_mul_i32 s58, s71, s37                                    // 0000000025E8: 923A2547
	s_sub_u32 s58, s36, s58                                    // 0000000025EC: 80BA3A24
	s_mov_b32 s59, 0                                           // 0000000025F0: BEBB0080
	s_cmp_lt_u32 s58, s44                                      // 0000000025F4: BF0A2C3A
	s_cselect_b32 s59, s59, 1                                  // 0000000025F8: 853B813B
	s_add_u32 s71, s59, s71                                    // 0000000025FC: 8047473B
	s_cmpk_eq_u32 s59, 0x1                                     // 000000002600: B43B0001
	s_cselect_b32 s49, 0, s58                                  // 000000002604: 85313A80
	s_mov_b32 s48, s49                                         // 000000002608: BEB00031
	v_lshrrev_b32_e32 v28, 2, v0                               // 00000000260C: 20380082
	s_mul_i32 s58, s6, 32                                      // 000000002610: 923AA006
	v_add_u32_e64 v26, v28, s58                                // 000000002614: D134001A 0000751C
	s_mov_b32 s58, 16                                          // 00000000261C: BEBA0090
	v_add_u32_e32 v27, s58, v26                                // 000000002620: 6836343A
	v_lshlrev_b32_e32 v26, 2, v26                              // 000000002624: 24343482
	v_lshlrev_b32_e32 v27, 2, v27                              // 000000002628: 24363682
	s_mul_i32 s58, s45, 4                                      // 00000000262C: 923A842D
	v_add_u32_e32 v26, s58, v26                                // 000000002630: 6834343A
	v_add_u32_e32 v27, s58, v27                                // 000000002634: 6836363A
	buffer_load_dword v22, v26, s[24:27], 0 offen              // 000000002638: E0501000 8006161A
	buffer_load_dword v23, v27, s[24:27], 0 offen              // 000000002640: E0501000 8006171B
	v_add_u32_e32 v26, s73, v26                                // 000000002648: 68343449
	v_add_u32_e32 v27, s73, v27                                // 00000000264C: 68363649
	buffer_load_dword v24, v26, s[24:27], 0 offen              // 000000002650: E0501000 8006181A
	buffer_load_dword v25, v27, s[24:27], 0 offen              // 000000002658: E0501000 8006191B
	v_add_u32_e32 v26, s73, v26                                // 000000002660: 68343449
	v_add_u32_e32 v27, s73, v27                                // 000000002664: 68363649
	s_mul_i32 s58, 0x240, 16                                   // 000000002668: 923A90FF 00000240
	s_mul_i32 s58, s79, s58                                    // 000000002670: 923A3A4F
	s_add_u32 s16, s58, s16                                    // 000000002674: 8010103A
	s_addc_u32 s17, 0, s17                                     // 000000002678: 82111180
	s_mul_i32 s58, s6, 0x400                                   // 00000000267C: 923AFF06 00000400
	s_add_u32 m0, 0, s58                                       // 000000002684: 807C3A80
	v_and_b32_e32 v28, 3, v0                                   // 000000002688: 26380083
	v_mov_b32_e32 v29, 0                                       // 00000000268C: 7E3A0280
	s_mov_b32 s58, 0                                           // 000000002690: BEBA0080
	s_mov_b32 s59, -1                                          // 000000002694: BEBB00C1
	v_cndmask_b32_e64 v30, v29, v28, s[58:59]                  // 000000002698: D100001E 00EA391D
	s_nop 2                                                    // 0000000026A0: BF800002
	v_mov_b32_dpp v30, v30 quad_perm:[2,3,0,1] row_mask:0xf bank_mask:0xf// 0000000026A4: 7E3C02FA FF004E1E
	v_cndmask_b32_e64 v31, v28, v30, s[58:59]                  // 0000000026AC: D100001F 00EA3D1C
	v_lshlrev_b32_e32 v31, 4, v31                              // 0000000026B4: 243E3E84
	v_mov_b32_e32 v1, v31                                      // 0000000026B8: 7E02031F
	v_lshrrev_b32_e32 v28, 2, v0                               // 0000000026BC: 20380082
	s_mov_b32 s58, 0x240                                       // 0000000026C0: BEBA00FF 00000240
	v_mul_i32_i24_e64 v28, v28, s58                            // 0000000026C8: D106001C 0000751C
	s_mul_i32 s58, s6, 64                                      // 0000000026D0: 923AC006
	v_add_u32_e32 v29, v28, v31                                // 0000000026D4: 683A3F1C
	v_add_u32_e64 v29, v29, s58                                // 0000000026D8: D134001D 0000751D
	buffer_load_dwordx4 v29, s[16:19], 0 offen lds             // 0000000026E0: E05D1000 8004001D
	s_add_u32 m0, m0, 0x1000                                   // 0000000026E8: 807CFF7C 00001000
	v_add_u32_e32 v29, 0x100, v29                              // 0000000026F0: 683A3AFF 00000100
	buffer_load_dwordx4 v29, s[16:19], 0 offen lds             // 0000000026F8: E05D1000 8004001D
	s_add_u32 m0, m0, 0x1000                                   // 000000002700: 807CFF7C 00001000
	v_add_u32_e32 v29, 0x100, v29                              // 000000002708: 683A3AFF 00000100
	buffer_load_dwordx4 v29, s[16:19], 0 offen lds             // 000000002710: E05D1000 8004001D
	s_add_u32 m0, m0, 0x1000                                   // 000000002718: 807CFF7C 00001000
	v_add_u32_e32 v29, 0x100, v29                              // 000000002720: 683A3AFF 00000100
	s_mov_b32 s52, 0x7060302                                   // 000000002728: BEB400FF 07060302
	s_mov_b32 s53, 0x5040100                                   // 000000002730: BEB500FF 05040100
	s_mul_i32 s51, s6, 4                                       // 000000002738: 92338406
	s_mov_b32 s5, 0x3fb8aa3b                                   // 00000000273C: BE8500FF 3FB8AA3B
	v_mov_b32_e32 v29, s5                                      // 000000002744: 7E3A0205
	v_mov_b32_e32 v28, s64                                     // 000000002748: 7E380240
	v_mul_f32_e32 v28, s5, v28                                 // 00000000274C: 0A383805
	v_rcp_f32_e32 v29, v29                                     // 000000002750: 7E3A451D
	v_mov_b32_e32 v2, 0xff800000                               // 000000002754: 7E0402FF FF800000
	v_mov_b32_e32 v18, 0                                       // 00000000275C: 7E240280
	v_mov_b32_e32 v4, 0                                        // 000000002760: 7E080280
	v_readfirstlane_b32 s96, v28                               // 000000002764: 7EC0051C
	v_readfirstlane_b32 s63, v29                               // 000000002768: 7E7E051D
	s_waitcnt lgkmcnt(0)                                       // 00000000276C: BF8CC07F
	v_mov_b32_e32 v28, s60                                     // 000000002770: 7E38023C
	v_mul_f32_e32 v28, s61, v28                                // 000000002774: 0A38383D
	v_mul_f32_e32 v29, s96, v28                                // 000000002778: 0A3A3860
	v_mul_f32_e32 v31, s64, v28                                // 00000000277C: 0A3E3840
	v_readfirstlane_b32 s96, v29                               // 000000002780: 7EC0051D
	v_readfirstlane_b32 s64, v31                               // 000000002784: 7E80051F
	s_mov_b32 s97, s96                                         // 000000002788: BEE10060
	v_accvgpr_write_b32 a36, 0                                 // 00000000278C: D3D94024 18000080
	v_accvgpr_write_b32 a37, 0                                 // 000000002794: D3D94025 18000080
	v_accvgpr_write_b32 a38, 0                                 // 00000000279C: D3D94026 18000080
	v_accvgpr_write_b32 a39, 0                                 // 0000000027A4: D3D94027 18000080
	v_accvgpr_write_b32 a76, 0                                 // 0000000027AC: D3D9404C 18000080
	v_accvgpr_write_b32 a77, 0                                 // 0000000027B4: D3D9404D 18000080
	v_accvgpr_write_b32 a78, 0                                 // 0000000027BC: D3D9404E 18000080
	v_accvgpr_write_b32 a79, 0                                 // 0000000027C4: D3D9404F 18000080
	v_accvgpr_write_b32 a116, 0                                // 0000000027CC: D3D94074 18000080
	v_accvgpr_write_b32 a117, 0                                // 0000000027D4: D3D94075 18000080
	v_accvgpr_write_b32 a118, 0                                // 0000000027DC: D3D94076 18000080
	v_accvgpr_write_b32 a119, 0                                // 0000000027E4: D3D94077 18000080
	s_mov_b32 s54, 0x4000                                      // 0000000027EC: BEB600FF 00004000
	s_mov_b32 s55, 0x6400                                      // 0000000027F4: BEB700FF 00006400
	s_mov_b32 s56, 0x16000                                     // 0000000027FC: BEB800FF 00016000
	s_mov_b32 s57, 0x18400                                     // 000000002804: BEB900FF 00018400
	s_mul_i32 s59, s6, 0x4800                                  // 00000000280C: 923BFF06 00004800
	s_add_u32 s54, s59, s54                                    // 000000002814: 8036363B
	s_add_u32 s55, s59, s55                                    // 000000002818: 8037373B
	s_add_u32 s56, s59, s56                                    // 00000000281C: 8038383B
	s_add_u32 s57, s59, s57                                    // 000000002820: 8039393B
	v_lshlrev_b32_e32 v34, 3, v0                               // 000000002824: 24440083
	s_mov_b32 s58, 0x200                                       // 000000002828: BEBA00FF 00000200
	s_mul_i32 s58, s58, s6                                     // 000000002830: 923A063A
	v_add_u32_e32 v34, s58, v34                                // 000000002834: 6844443A
	v_and_b32_e32 v28, 31, v0                                  // 000000002838: 2638009F
	v_lshlrev_b32_e32 v35, 3, v28                              // 00000000283C: 24463883
	v_lshrrev_b32_e32 v28, 5, v0                               // 000000002840: 20380085
	s_mov_b32 s58, 0x200                                       // 000000002844: BEBA00FF 00000200
	v_mul_i32_i24_e32 v28, s58, v28                            // 00000000284C: 0C38383A
	v_add_u32_e32 v35, v28, v35                                // 000000002850: 6846471C
	v_lshlrev_b32_e32 v36, 2, v0                               // 000000002854: 24480082
	s_mul_i32 s58, 0x100, s6                                   // 000000002858: 923A06FF 00000100
	v_add_u32_e32 v36, s58, v36                                // 000000002860: 6848483A
	v_lshlrev_b32_e32 v37, 2, v0                               // 000000002864: 244A0082
	s_waitcnt vmcnt(3)                                         // 000000002868: BF8C0F73
	v_mul_u32_u24_e64 v32, v22, s68                            // 00000000286C: D1080020 00008916
	v_mul_u32_u24_e64 v33, v23, s68                            // 000000002874: D1080021 00008917
	v_mul_hi_u32 v192, v22, s68                                // 00000000287C: D28600C0 00008916
	v_mul_hi_u32 v193, v23, s68                                // 000000002884: D28600C1 00008917
	v_add_co_u32_e32 v32, vcc, v32, v1                         // 00000000288C: 32400320
	v_addc_co_u32_e64 v192, vcc, v192, 0, vcc                  // 000000002890: D11C6AC0 01A901C0
	v_add_co_u32_e32 v33, vcc, v33, v1                         // 000000002898: 32420321
	v_addc_co_u32_e64 v193, vcc, v193, 0, vcc                  // 00000000289C: D11C6AC1 01A901C1
	s_mov_b32 m0, s56                                          // 0000000028A4: BEFC0038
	s_mov_b32 s59, 0                                           // 0000000028A8: BEBB0080
	v_mov_b32_e32 v28, s59                                     // 0000000028AC: 7E38023B
	v_add_co_u32_e32 v218, vcc, s20, v32                       // 0000000028B0: 33B44014
	v_addc_co_u32_e32 v219, vcc, v215, v192, vcc               // 0000000028B4: 39B781D7
	v_add_co_u32_e32 v218, vcc, v218, v28                      // 0000000028B8: 33B439DA
	v_addc_co_u32_e64 v219, vcc, v219, 0, vcc                  // 0000000028BC: D11C6ADB 01A901DB
	s_add_i32 m0, m0, s59                                      // 0000000028C4: 817C3B7C
	global_load_lds_dwordx4 v[218:219], off                    // 0000000028C8: DDF48000 007F00DA
	s_add_i32 m0, m0, 0x3c0                                    // 0000000028D0: 817CFF7C 000003C0
	s_mov_b32 s59, 64                                          // 0000000028D8: BEBB00C0
	v_mov_b32_e32 v28, s59                                     // 0000000028DC: 7E38023B
	v_add_co_u32_e32 v218, vcc, s20, v32                       // 0000000028E0: 33B44014
	v_addc_co_u32_e32 v219, vcc, v215, v192, vcc               // 0000000028E4: 39B781D7
	v_add_co_u32_e32 v218, vcc, v218, v28                      // 0000000028E8: 33B439DA
	v_addc_co_u32_e64 v219, vcc, v219, 0, vcc                  // 0000000028EC: D11C6ADB 01A901DB
	s_add_i32 m0, m0, s59                                      // 0000000028F4: 817C3B7C
	global_load_lds_dwordx4 v[218:219], off                    // 0000000028F8: DDF48000 007F00DA
	s_add_i32 m0, m0, 0x380                                    // 000000002900: 817CFF7C 00000380
	s_mov_b32 s59, 0x80                                        // 000000002908: BEBB00FF 00000080
	v_mov_b32_e32 v28, s59                                     // 000000002910: 7E38023B
	v_add_co_u32_e32 v218, vcc, s20, v32                       // 000000002914: 33B44014
	v_addc_co_u32_e32 v219, vcc, v215, v192, vcc               // 000000002918: 39B781D7
	v_add_co_u32_e32 v218, vcc, v218, v28                      // 00000000291C: 33B439DA
	v_addc_co_u32_e64 v219, vcc, v219, 0, vcc                  // 000000002920: D11C6ADB 01A901DB
	s_add_i32 m0, m0, s59                                      // 000000002928: 817C3B7C
	global_load_lds_dwordx4 v[218:219], off                    // 00000000292C: DDF48000 007F00DA
	s_add_i32 m0, m0, 0x340                                    // 000000002934: 817CFF7C 00000340
	s_mov_b32 s59, 0xc0                                        // 00000000293C: BEBB00FF 000000C0
	v_mov_b32_e32 v28, s59                                     // 000000002944: 7E38023B
	v_add_co_u32_e32 v218, vcc, s20, v32                       // 000000002948: 33B44014
	v_addc_co_u32_e32 v219, vcc, v215, v192, vcc               // 00000000294C: 39B781D7
	v_add_co_u32_e32 v218, vcc, v218, v28                      // 000000002950: 33B439DA
	v_addc_co_u32_e64 v219, vcc, v219, 0, vcc                  // 000000002954: D11C6ADB 01A901DB
	s_add_i32 m0, m0, s59                                      // 00000000295C: 817C3B7C
	global_load_lds_dwordx4 v[218:219], off                    // 000000002960: DDF48000 007F00DA
	s_add_i32 m0, m0, 0x300                                    // 000000002968: 817CFF7C 00000300
	s_mov_b32 s59, 0x100                                       // 000000002970: BEBB00FF 00000100
	v_mov_b32_e32 v28, s59                                     // 000000002978: 7E38023B
	v_add_co_u32_e32 v218, vcc, s20, v32                       // 00000000297C: 33B44014
	v_addc_co_u32_e32 v219, vcc, v215, v192, vcc               // 000000002980: 39B781D7
	v_add_co_u32_e32 v218, vcc, v218, v28                      // 000000002984: 33B439DA
	v_addc_co_u32_e64 v219, vcc, v219, 0, vcc                  // 000000002988: D11C6ADB 01A901DB
	s_add_i32 m0, m0, s59                                      // 000000002990: 817C3B7C
	global_load_lds_dwordx4 v[218:219], off                    // 000000002994: DDF48000 007F00DA
	s_add_i32 m0, m0, 0x2c0                                    // 00000000299C: 817CFF7C 000002C0
	s_mov_b32 s59, 0x140                                       // 0000000029A4: BEBB00FF 00000140
	v_mov_b32_e32 v28, s59                                     // 0000000029AC: 7E38023B
	v_add_co_u32_e32 v218, vcc, s20, v32                       // 0000000029B0: 33B44014
	v_addc_co_u32_e32 v219, vcc, v215, v192, vcc               // 0000000029B4: 39B781D7
	v_add_co_u32_e32 v218, vcc, v218, v28                      // 0000000029B8: 33B439DA
	v_addc_co_u32_e64 v219, vcc, v219, 0, vcc                  // 0000000029BC: D11C6ADB 01A901DB
	s_add_i32 m0, m0, s59                                      // 0000000029C4: 817C3B7C
	global_load_lds_dwordx4 v[218:219], off                    // 0000000029C8: DDF48000 007F00DA
	s_add_i32 m0, m0, 0x280                                    // 0000000029D0: 817CFF7C 00000280
	s_mov_b32 s59, 0x180                                       // 0000000029D8: BEBB00FF 00000180
	v_mov_b32_e32 v28, s59                                     // 0000000029E0: 7E38023B
	v_add_co_u32_e32 v218, vcc, s20, v32                       // 0000000029E4: 33B44014
	v_addc_co_u32_e32 v219, vcc, v215, v192, vcc               // 0000000029E8: 39B781D7
	v_add_co_u32_e32 v218, vcc, v218, v28                      // 0000000029EC: 33B439DA
	v_addc_co_u32_e64 v219, vcc, v219, 0, vcc                  // 0000000029F0: D11C6ADB 01A901DB
	s_add_i32 m0, m0, s59                                      // 0000000029F8: 817C3B7C
	global_load_lds_dwordx4 v[218:219], off                    // 0000000029FC: DDF48000 007F00DA
	s_add_i32 m0, m0, 0x240                                    // 000000002A04: 817CFF7C 00000240
	s_mov_b32 s59, 0x1c0                                       // 000000002A0C: BEBB00FF 000001C0
	v_mov_b32_e32 v28, s59                                     // 000000002A14: 7E38023B
	v_add_co_u32_e32 v218, vcc, s20, v32                       // 000000002A18: 33B44014
	v_addc_co_u32_e32 v219, vcc, v215, v192, vcc               // 000000002A1C: 39B781D7
	v_add_co_u32_e32 v218, vcc, v218, v28                      // 000000002A20: 33B439DA
	v_addc_co_u32_e64 v219, vcc, v219, 0, vcc                  // 000000002A24: D11C6ADB 01A901DB
	s_add_i32 m0, m0, s59                                      // 000000002A2C: 817C3B7C
	global_load_lds_dwordx4 v[218:219], off                    // 000000002A30: DDF48000 007F00DA
	s_add_i32 m0, m0, 0x200                                    // 000000002A38: 817CFF7C 00000200
	s_mov_b32 s59, 0x200                                       // 000000002A40: BEBB00FF 00000200
	v_mov_b32_e32 v28, s59                                     // 000000002A48: 7E38023B
	v_add_co_u32_e32 v218, vcc, s20, v32                       // 000000002A4C: 33B44014
	v_addc_co_u32_e32 v219, vcc, v215, v192, vcc               // 000000002A50: 39B781D7
	v_add_co_u32_e32 v218, vcc, v218, v28                      // 000000002A54: 33B439DA
	v_addc_co_u32_e64 v219, vcc, v219, 0, vcc                  // 000000002A58: D11C6ADB 01A901DB
	s_add_i32 m0, m0, s59                                      // 000000002A60: 817C3B7C
	global_load_lds_dwordx4 v[218:219], off                    // 000000002A64: DDF48000 007F00DA
	s_add_i32 m0, m0, 0x1c0                                    // 000000002A6C: 817CFF7C 000001C0
	s_waitcnt lgkmcnt(0)                                       // 000000002A74: BF8CC07F
	s_mov_b32 m0, s57                                          // 000000002A78: BEFC0039
	s_mov_b32 s59, 0                                           // 000000002A7C: BEBB0080
	v_mov_b32_e32 v28, s59                                     // 000000002A80: 7E38023B
	v_add_co_u32_e32 v218, vcc, s20, v33                       // 000000002A84: 33B44214
	v_addc_co_u32_e32 v219, vcc, v215, v193, vcc               // 000000002A88: 39B783D7
	v_add_co_u32_e32 v218, vcc, v218, v28                      // 000000002A8C: 33B439DA
	v_addc_co_u32_e64 v219, vcc, v219, 0, vcc                  // 000000002A90: D11C6ADB 01A901DB
	s_add_i32 m0, m0, s59                                      // 000000002A98: 817C3B7C
	global_load_lds_dwordx4 v[218:219], off                    // 000000002A9C: DDF48000 007F00DA
	s_add_i32 m0, m0, 0x3c0                                    // 000000002AA4: 817CFF7C 000003C0
	s_mov_b32 s59, 64                                          // 000000002AAC: BEBB00C0
	v_mov_b32_e32 v28, s59                                     // 000000002AB0: 7E38023B
	v_add_co_u32_e32 v218, vcc, s20, v33                       // 000000002AB4: 33B44214
	v_addc_co_u32_e32 v219, vcc, v215, v193, vcc               // 000000002AB8: 39B783D7
	v_add_co_u32_e32 v218, vcc, v218, v28                      // 000000002ABC: 33B439DA
	v_addc_co_u32_e64 v219, vcc, v219, 0, vcc                  // 000000002AC0: D11C6ADB 01A901DB
	s_add_i32 m0, m0, s59                                      // 000000002AC8: 817C3B7C
	global_load_lds_dwordx4 v[218:219], off                    // 000000002ACC: DDF48000 007F00DA
	s_add_i32 m0, m0, 0x380                                    // 000000002AD4: 817CFF7C 00000380
	s_mov_b32 s59, 0x80                                        // 000000002ADC: BEBB00FF 00000080
	v_mov_b32_e32 v28, s59                                     // 000000002AE4: 7E38023B
	v_add_co_u32_e32 v218, vcc, s20, v33                       // 000000002AE8: 33B44214
	v_addc_co_u32_e32 v219, vcc, v215, v193, vcc               // 000000002AEC: 39B783D7
	v_add_co_u32_e32 v218, vcc, v218, v28                      // 000000002AF0: 33B439DA
	v_addc_co_u32_e64 v219, vcc, v219, 0, vcc                  // 000000002AF4: D11C6ADB 01A901DB
	s_add_i32 m0, m0, s59                                      // 000000002AFC: 817C3B7C
	global_load_lds_dwordx4 v[218:219], off                    // 000000002B00: DDF48000 007F00DA
	s_add_i32 m0, m0, 0x340                                    // 000000002B08: 817CFF7C 00000340
	s_mov_b32 s59, 0xc0                                        // 000000002B10: BEBB00FF 000000C0
	v_mov_b32_e32 v28, s59                                     // 000000002B18: 7E38023B
	v_add_co_u32_e32 v218, vcc, s20, v33                       // 000000002B1C: 33B44214
	v_addc_co_u32_e32 v219, vcc, v215, v193, vcc               // 000000002B20: 39B783D7
	v_add_co_u32_e32 v218, vcc, v218, v28                      // 000000002B24: 33B439DA
	v_addc_co_u32_e64 v219, vcc, v219, 0, vcc                  // 000000002B28: D11C6ADB 01A901DB
	s_add_i32 m0, m0, s59                                      // 000000002B30: 817C3B7C
	global_load_lds_dwordx4 v[218:219], off                    // 000000002B34: DDF48000 007F00DA
	s_add_i32 m0, m0, 0x300                                    // 000000002B3C: 817CFF7C 00000300
	s_mov_b32 s59, 0x100                                       // 000000002B44: BEBB00FF 00000100
	v_mov_b32_e32 v28, s59                                     // 000000002B4C: 7E38023B
	v_add_co_u32_e32 v218, vcc, s20, v33                       // 000000002B50: 33B44214
	v_addc_co_u32_e32 v219, vcc, v215, v193, vcc               // 000000002B54: 39B783D7
	v_add_co_u32_e32 v218, vcc, v218, v28                      // 000000002B58: 33B439DA
	v_addc_co_u32_e64 v219, vcc, v219, 0, vcc                  // 000000002B5C: D11C6ADB 01A901DB
	s_add_i32 m0, m0, s59                                      // 000000002B64: 817C3B7C
	global_load_lds_dwordx4 v[218:219], off                    // 000000002B68: DDF48000 007F00DA
	s_add_i32 m0, m0, 0x2c0                                    // 000000002B70: 817CFF7C 000002C0
	s_mov_b32 s59, 0x140                                       // 000000002B78: BEBB00FF 00000140
	v_mov_b32_e32 v28, s59                                     // 000000002B80: 7E38023B
	v_add_co_u32_e32 v218, vcc, s20, v33                       // 000000002B84: 33B44214
	v_addc_co_u32_e32 v219, vcc, v215, v193, vcc               // 000000002B88: 39B783D7
	v_add_co_u32_e32 v218, vcc, v218, v28                      // 000000002B8C: 33B439DA
	v_addc_co_u32_e64 v219, vcc, v219, 0, vcc                  // 000000002B90: D11C6ADB 01A901DB
	s_add_i32 m0, m0, s59                                      // 000000002B98: 817C3B7C
	global_load_lds_dwordx4 v[218:219], off                    // 000000002B9C: DDF48000 007F00DA
	s_add_i32 m0, m0, 0x280                                    // 000000002BA4: 817CFF7C 00000280
	s_mov_b32 s59, 0x180                                       // 000000002BAC: BEBB00FF 00000180
	v_mov_b32_e32 v28, s59                                     // 000000002BB4: 7E38023B
	v_add_co_u32_e32 v218, vcc, s20, v33                       // 000000002BB8: 33B44214
	v_addc_co_u32_e32 v219, vcc, v215, v193, vcc               // 000000002BBC: 39B783D7
	v_add_co_u32_e32 v218, vcc, v218, v28                      // 000000002BC0: 33B439DA
	v_addc_co_u32_e64 v219, vcc, v219, 0, vcc                  // 000000002BC4: D11C6ADB 01A901DB
	s_add_i32 m0, m0, s59                                      // 000000002BCC: 817C3B7C
	global_load_lds_dwordx4 v[218:219], off                    // 000000002BD0: DDF48000 007F00DA
	s_add_i32 m0, m0, 0x240                                    // 000000002BD8: 817CFF7C 00000240
	s_mov_b32 s59, 0x1c0                                       // 000000002BE0: BEBB00FF 000001C0
	v_mov_b32_e32 v28, s59                                     // 000000002BE8: 7E38023B
	v_add_co_u32_e32 v218, vcc, s20, v33                       // 000000002BEC: 33B44214
	v_addc_co_u32_e32 v219, vcc, v215, v193, vcc               // 000000002BF0: 39B783D7
	v_add_co_u32_e32 v218, vcc, v218, v28                      // 000000002BF4: 33B439DA
	v_addc_co_u32_e64 v219, vcc, v219, 0, vcc                  // 000000002BF8: D11C6ADB 01A901DB
	s_add_i32 m0, m0, s59                                      // 000000002C00: 817C3B7C
	global_load_lds_dwordx4 v[218:219], off                    // 000000002C04: DDF48000 007F00DA
	s_add_i32 m0, m0, 0x200                                    // 000000002C0C: 817CFF7C 00000200
	s_mov_b32 s59, 0x200                                       // 000000002C14: BEBB00FF 00000200
	v_mov_b32_e32 v28, s59                                     // 000000002C1C: 7E38023B
	v_add_co_u32_e32 v218, vcc, s20, v33                       // 000000002C20: 33B44214
	v_addc_co_u32_e32 v219, vcc, v215, v193, vcc               // 000000002C24: 39B783D7
	v_add_co_u32_e32 v218, vcc, v218, v28                      // 000000002C28: 33B439DA
	v_addc_co_u32_e64 v219, vcc, v219, 0, vcc                  // 000000002C2C: D11C6ADB 01A901DB
	s_add_i32 m0, m0, s59                                      // 000000002C34: 817C3B7C
	global_load_lds_dwordx4 v[218:219], off                    // 000000002C38: DDF48000 007F00DA
	s_add_i32 m0, m0, 0x1c0                                    // 000000002C40: 817CFF7C 000001C0
	s_waitcnt lgkmcnt(0)                                       // 000000002C48: BF8CC07F
	buffer_load_dword v22, v26, s[24:27], 0 offen              // 000000002C4C: E0501000 8006161A
	buffer_load_dword v23, v27, s[24:27], 0 offen              // 000000002C54: E0501000 8006171B
	v_add_u32_e32 v26, s73, v26                                // 000000002C5C: 68343449
	v_add_u32_e32 v27, s73, v27                                // 000000002C60: 68363649
	v_lshrrev_b32_e32 v28, 4, v0                               // 000000002C64: 20380084
	v_lshlrev_b32_e32 v28, 2, v28                              // 000000002C68: 24383882
	v_sub_u32_e32 v29, 12, v28                                 // 000000002C6C: 6A3A388C
	v_mov_b32_e32 v30, v29                                     // 000000002C70: 7E3C031D
	s_nop 1                                                    // 000000002C74: BF800001
	v_permlane16_swap_b32_e32 v29, v30                         // 000000002C78: 7E3AB31E
	s_nop 1                                                    // 000000002C7C: BF800001
	v_permlane16_swap_b32_e32 v30, v29                         // 000000002C80: 7E3CB31D
	s_mov_b32 s58, 0xff00ff00                                  // 000000002C84: BEBA00FF FF00FF00
	s_mov_b32 s59, 0xff00ff00                                  // 000000002C8C: BEBB00FF FF00FF00
	v_cndmask_b32_e64 v30, v28, v29, s[58:59]                  // 000000002C94: D100001E 00EA3B1C
	v_and_b32_e32 v28, 15, v0                                  // 000000002C9C: 2638008F
	v_lshlrev_b32_e32 v28, 4, v28                              // 000000002CA0: 24383884
	v_add_u32_e32 v4, v28, v30                                 // 000000002CA4: 68083D1C
	v_lshlrev_b32_e32 v4, 2, v4                                // 000000002CA8: 24080882
	s_waitcnt lgkmcnt(0)                                       // 000000002CAC: BF8CC07F
	s_waitcnt vmcnt(2)                                         // 000000002CB0: BF8C0F72
	s_barrier                                                  // 000000002CB4: BF8A0000
	ds_read_b128 a[0:3], v4                                    // 000000002CB8: DBFE0000 00000004
	ds_read_b128 a[4:7], v4 offset:1024                        // 000000002CC0: DBFE0400 04000004
	ds_read_b128 a[8:11], v4 offset:2048                       // 000000002CC8: DBFE0800 08000004
	ds_read_b128 a[12:15], v4 offset:3072                      // 000000002CD0: DBFE0C00 0C000004
	ds_read_b128 a[16:19], v4 offset:4096                      // 000000002CD8: DBFE1000 10000004
	ds_read_b128 a[20:23], v4 offset:5120                      // 000000002CE0: DBFE1400 14000004
	ds_read_b128 a[24:27], v4 offset:6144                      // 000000002CE8: DBFE1800 18000004
	ds_read_b128 a[28:31], v4 offset:7168                      // 000000002CF0: DBFE1C00 1C000004
	ds_read_b128 a[32:35], v4 offset:8192                      // 000000002CF8: DBFE2000 20000004
	v_mov_b32_e32 v70, 0                                       // 000000002D00: 7E8C0280
	v_mov_b32_e32 v71, 0                                       // 000000002D04: 7E8E0280
	v_mov_b32_e32 v72, 0                                       // 000000002D08: 7E900280
	v_mov_b32_e32 v73, 0                                       // 000000002D0C: 7E920280
	v_mov_b32_e32 v74, 0                                       // 000000002D10: 7E940280
	v_mov_b32_e32 v75, 0                                       // 000000002D14: 7E960280
	v_mov_b32_e32 v76, 0                                       // 000000002D18: 7E980280
	v_mov_b32_e32 v77, 0                                       // 000000002D1C: 7E9A0280
	v_mov_b32_e32 v78, 0                                       // 000000002D20: 7E9C0280
	v_mov_b32_e32 v79, 0                                       // 000000002D24: 7E9E0280
	v_mov_b32_e32 v80, 0                                       // 000000002D28: 7EA00280
	v_mov_b32_e32 v81, 0                                       // 000000002D2C: 7EA20280
	v_mov_b32_e32 v82, 0                                       // 000000002D30: 7EA40280
	v_mov_b32_e32 v83, 0                                       // 000000002D34: 7EA60280
	v_mov_b32_e32 v84, 0                                       // 000000002D38: 7EA80280
	v_mov_b32_e32 v85, 0                                       // 000000002D3C: 7EAA0280
	v_mov_b32_e32 v86, 0                                       // 000000002D40: 7EAC0280
	v_mov_b32_e32 v87, 0                                       // 000000002D44: 7EAE0280
	v_mov_b32_e32 v88, 0                                       // 000000002D48: 7EB00280
	v_mov_b32_e32 v89, 0                                       // 000000002D4C: 7EB20280
	v_mov_b32_e32 v90, 0                                       // 000000002D50: 7EB40280
	v_mov_b32_e32 v91, 0                                       // 000000002D54: 7EB60280
	v_mov_b32_e32 v92, 0                                       // 000000002D58: 7EB80280
	v_mov_b32_e32 v93, 0                                       // 000000002D5C: 7EBA0280
	v_mov_b32_e32 v94, 0                                       // 000000002D60: 7EBC0280
	v_mov_b32_e32 v95, 0                                       // 000000002D64: 7EBE0280
	v_mov_b32_e32 v96, 0                                       // 000000002D68: 7EC00280
	v_mov_b32_e32 v97, 0                                       // 000000002D6C: 7EC20280
	v_mov_b32_e32 v98, 0                                       // 000000002D70: 7EC40280
	v_mov_b32_e32 v99, 0                                       // 000000002D74: 7EC60280
	v_mov_b32_e32 v100, 0                                      // 000000002D78: 7EC80280
	v_mov_b32_e32 v101, 0                                      // 000000002D7C: 7ECA0280
	v_lshrrev_b32_e32 v28, 4, v0                               // 000000002D80: 20380084
	v_lshlrev_b32_e32 v28, 2, v28                              // 000000002D84: 24383882
	v_sub_u32_e32 v29, 12, v28                                 // 000000002D88: 6A3A388C
	v_mov_b32_e32 v30, v29                                     // 000000002D8C: 7E3C031D
	s_nop 1                                                    // 000000002D90: BF800001
	v_permlane16_swap_b32_e32 v29, v30                         // 000000002D94: 7E3AB31E
	s_nop 1                                                    // 000000002D98: BF800001
	v_permlane16_swap_b32_e32 v30, v29                         // 000000002D9C: 7E3CB31D
	s_mov_b32 s58, 0xff00ff00                                  // 000000002DA0: BEBA00FF FF00FF00
	s_mov_b32 s59, 0xff00ff00                                  // 000000002DA8: BEBB00FF FF00FF00
	v_cndmask_b32_e64 v30, v28, v29, s[58:59]                  // 000000002DB0: D100001E 00EA3B1C
	v_and_b32_e32 v28, 15, v0                                  // 000000002DB8: 2638008F
	v_lshlrev_b32_e32 v28, 4, v28                              // 000000002DBC: 24383884
	v_add_u32_e32 v20, v28, v30                                // 000000002DC0: 68283D1C
	v_lshlrev_b32_e32 v21, 2, v20                              // 000000002DC4: 242A2882
	s_mov_b32 s58, 0x4000                                      // 000000002DC8: BEBA00FF 00004000
	v_add_u32_e32 v20, s58, v21                                // 000000002DD0: 68282A3A
	s_mov_b32 s59, 0x12000                                     // 000000002DD4: BEBB00FF 00012000
	v_add_u32_e32 v21, s59, v20                                // 000000002DDC: 682A283B
	s_mov_b32 s58, 0x4800                                      // 000000002DE0: BEBA00FF 00004800
	s_mul_i32 s58, s58, s6                                     // 000000002DE8: 923A063A
	v_add_u32_e32 v20, s58, v20                                // 000000002DEC: 6828283A
	v_add_u32_e32 v21, s58, v21                                // 000000002DF0: 682A2A3A
	v_and_b32_e32 v28, 15, v0                                  // 000000002DF4: 2638008F
	v_lshrrev_b32_e32 v28, 1, v28                              // 000000002DF8: 20383881
	v_lshlrev_b32_e32 v28, 4, v28                              // 000000002DFC: 24383884
	v_and_b32_e32 v29, 1, v0                                   // 000000002E00: 263A0081
	v_lshlrev_b32_e32 v29, 1, v29                              // 000000002E04: 243A3A81
	v_lshrrev_b32_e32 v31, 4, v0                               // 000000002E08: 203E0084
	s_mov_b32 s58, 0x900                                       // 000000002E0C: BEBA00FF 00000900
	v_mul_i32_i24_e32 v31, s58, v31                            // 000000002E14: 0C3E3E3A
	v_add_u32_e32 v6, v28, v29                                 // 000000002E18: 680C3B1C
	v_add_u32_e32 v6, v31, v6                                  // 000000002E1C: 680C0D1F
	s_mov_b32 s58, 0x88                                        // 000000002E20: BEBA00FF 00000088
	v_add_u32_e32 v7, s58, v6                                  // 000000002E28: 680E0C3A
	s_mov_b32 s58, 8                                           // 000000002E2C: BEBA0088
	v_add_u32_e32 v8, s58, v6                                  // 000000002E30: 68100C3A
	s_mov_b32 s58, 0x80                                        // 000000002E34: BEBA00FF 00000080
	v_add_u32_e32 v9, s58, v6                                  // 000000002E3C: 68120C3A
	s_mov_b32 s58, s6                                          // 000000002E40: BEBA0006
	s_mov_b32 s59, 0x200                                       // 000000002E44: BEBB00FF 00000200
	s_mul_i32 s58, s59, s58                                    // 000000002E4C: 923A3A3B
	v_add_u32_e32 v6, s58, v6                                  // 000000002E50: 680C0C3A
	v_add_u32_e32 v7, s58, v7                                  // 000000002E54: 680E0E3A
	v_add_u32_e32 v8, s58, v8                                  // 000000002E58: 6810103A
	v_add_u32_e32 v9, s58, v9                                  // 000000002E5C: 6812123A
	v_lshlrev_b32_e32 v6, 2, v6                                // 000000002E60: 240C0C82
	v_lshlrev_b32_e32 v7, 2, v7                                // 000000002E64: 240E0E82
	v_lshlrev_b32_e32 v8, 2, v8                                // 000000002E68: 24101082
	v_lshlrev_b32_e32 v9, 2, v9                                // 000000002E6C: 24121282
	s_mov_b32 s58, 0x4000                                      // 000000002E70: BEBA00FF 00004000
	v_add_u32_e32 v6, s58, v6                                  // 000000002E78: 680C0C3A
	v_add_u32_e32 v7, s58, v7                                  // 000000002E7C: 680E0E3A
	v_add_u32_e32 v8, s58, v8                                  // 000000002E80: 6810103A
	v_add_u32_e32 v9, s58, v9                                  // 000000002E84: 6812123A
	s_mov_b32 s58, 0x12000                                     // 000000002E88: BEBA00FF 00012000
	v_add_u32_e32 v10, s58, v6                                 // 000000002E90: 68140C3A
	v_add_u32_e32 v11, s58, v7                                 // 000000002E94: 68160E3A
	v_add_u32_e32 v12, s58, v8                                 // 000000002E98: 6818103A
	v_add_u32_e32 v13, s58, v9                                 // 000000002E9C: 681A123A
	v_mul_u32_u24_e64 v32, v24, s68                            // 000000002EA0: D1080020 00008918
	v_mul_u32_u24_e64 v33, v25, s68                            // 000000002EA8: D1080021 00008919
	v_mul_hi_u32 v192, v24, s68                                // 000000002EB0: D28600C0 00008918
	v_mul_hi_u32 v193, v25, s68                                // 000000002EB8: D28600C1 00008919
	v_add_co_u32_e32 v32, vcc, v32, v1                         // 000000002EC0: 32400320
	v_addc_co_u32_e64 v192, vcc, v192, 0, vcc                  // 000000002EC4: D11C6AC0 01A901C0
	v_add_co_u32_e32 v33, vcc, v33, v1                         // 000000002ECC: 32420321
	v_addc_co_u32_e64 v193, vcc, v193, 0, vcc                  // 000000002ED0: D11C6AC1 01A901C1
	s_mov_b32 m0, s54                                          // 000000002ED8: BEFC0036
	s_mov_b32 s59, 0                                           // 000000002EDC: BEBB0080
	v_mov_b32_e32 v28, s59                                     // 000000002EE0: 7E38023B
	v_add_co_u32_e32 v218, vcc, s20, v32                       // 000000002EE4: 33B44014
	v_addc_co_u32_e32 v219, vcc, v215, v192, vcc               // 000000002EE8: 39B781D7
	v_add_co_u32_e32 v218, vcc, v218, v28                      // 000000002EEC: 33B439DA
	v_addc_co_u32_e64 v219, vcc, v219, 0, vcc                  // 000000002EF0: D11C6ADB 01A901DB
	s_add_i32 m0, m0, s59                                      // 000000002EF8: 817C3B7C
	global_load_lds_dwordx4 v[218:219], off                    // 000000002EFC: DDF48000 007F00DA
	s_add_i32 m0, m0, 0x3c0                                    // 000000002F04: 817CFF7C 000003C0
	s_mov_b32 s59, 64                                          // 000000002F0C: BEBB00C0
	v_mov_b32_e32 v28, s59                                     // 000000002F10: 7E38023B
	v_add_co_u32_e32 v218, vcc, s20, v32                       // 000000002F14: 33B44014
	v_addc_co_u32_e32 v219, vcc, v215, v192, vcc               // 000000002F18: 39B781D7
	v_add_co_u32_e32 v218, vcc, v218, v28                      // 000000002F1C: 33B439DA
	v_addc_co_u32_e64 v219, vcc, v219, 0, vcc                  // 000000002F20: D11C6ADB 01A901DB
	s_add_i32 m0, m0, s59                                      // 000000002F28: 817C3B7C
	global_load_lds_dwordx4 v[218:219], off                    // 000000002F2C: DDF48000 007F00DA
	s_add_i32 m0, m0, 0x380                                    // 000000002F34: 817CFF7C 00000380
	s_mov_b32 s59, 0x80                                        // 000000002F3C: BEBB00FF 00000080
	v_mov_b32_e32 v28, s59                                     // 000000002F44: 7E38023B
	v_add_co_u32_e32 v218, vcc, s20, v32                       // 000000002F48: 33B44014
	v_addc_co_u32_e32 v219, vcc, v215, v192, vcc               // 000000002F4C: 39B781D7
	v_add_co_u32_e32 v218, vcc, v218, v28                      // 000000002F50: 33B439DA
	v_addc_co_u32_e64 v219, vcc, v219, 0, vcc                  // 000000002F54: D11C6ADB 01A901DB
	s_add_i32 m0, m0, s59                                      // 000000002F5C: 817C3B7C
	global_load_lds_dwordx4 v[218:219], off                    // 000000002F60: DDF48000 007F00DA
	s_add_i32 m0, m0, 0x340                                    // 000000002F68: 817CFF7C 00000340
	s_mov_b32 s59, 0xc0                                        // 000000002F70: BEBB00FF 000000C0
	v_mov_b32_e32 v28, s59                                     // 000000002F78: 7E38023B
	v_add_co_u32_e32 v218, vcc, s20, v32                       // 000000002F7C: 33B44014
	v_addc_co_u32_e32 v219, vcc, v215, v192, vcc               // 000000002F80: 39B781D7
	v_add_co_u32_e32 v218, vcc, v218, v28                      // 000000002F84: 33B439DA
	v_addc_co_u32_e64 v219, vcc, v219, 0, vcc                  // 000000002F88: D11C6ADB 01A901DB
	s_add_i32 m0, m0, s59                                      // 000000002F90: 817C3B7C
	global_load_lds_dwordx4 v[218:219], off                    // 000000002F94: DDF48000 007F00DA
	s_add_i32 m0, m0, 0x300                                    // 000000002F9C: 817CFF7C 00000300
	s_mov_b32 s59, 0x100                                       // 000000002FA4: BEBB00FF 00000100
	v_mov_b32_e32 v28, s59                                     // 000000002FAC: 7E38023B
	v_add_co_u32_e32 v218, vcc, s20, v32                       // 000000002FB0: 33B44014
	v_addc_co_u32_e32 v219, vcc, v215, v192, vcc               // 000000002FB4: 39B781D7
	v_add_co_u32_e32 v218, vcc, v218, v28                      // 000000002FB8: 33B439DA
	v_addc_co_u32_e64 v219, vcc, v219, 0, vcc                  // 000000002FBC: D11C6ADB 01A901DB
	s_add_i32 m0, m0, s59                                      // 000000002FC4: 817C3B7C
	global_load_lds_dwordx4 v[218:219], off                    // 000000002FC8: DDF48000 007F00DA
	s_add_i32 m0, m0, 0x2c0                                    // 000000002FD0: 817CFF7C 000002C0
	s_mov_b32 s59, 0x140                                       // 000000002FD8: BEBB00FF 00000140
	v_mov_b32_e32 v28, s59                                     // 000000002FE0: 7E38023B
	v_add_co_u32_e32 v218, vcc, s20, v32                       // 000000002FE4: 33B44014
	v_addc_co_u32_e32 v219, vcc, v215, v192, vcc               // 000000002FE8: 39B781D7
	v_add_co_u32_e32 v218, vcc, v218, v28                      // 000000002FEC: 33B439DA
	v_addc_co_u32_e64 v219, vcc, v219, 0, vcc                  // 000000002FF0: D11C6ADB 01A901DB
	s_add_i32 m0, m0, s59                                      // 000000002FF8: 817C3B7C
	global_load_lds_dwordx4 v[218:219], off                    // 000000002FFC: DDF48000 007F00DA
	s_add_i32 m0, m0, 0x280                                    // 000000003004: 817CFF7C 00000280
	s_mov_b32 s59, 0x180                                       // 00000000300C: BEBB00FF 00000180
	v_mov_b32_e32 v28, s59                                     // 000000003014: 7E38023B
	v_add_co_u32_e32 v218, vcc, s20, v32                       // 000000003018: 33B44014
	v_addc_co_u32_e32 v219, vcc, v215, v192, vcc               // 00000000301C: 39B781D7
	v_add_co_u32_e32 v218, vcc, v218, v28                      // 000000003020: 33B439DA
	v_addc_co_u32_e64 v219, vcc, v219, 0, vcc                  // 000000003024: D11C6ADB 01A901DB
	s_add_i32 m0, m0, s59                                      // 00000000302C: 817C3B7C
	global_load_lds_dwordx4 v[218:219], off                    // 000000003030: DDF48000 007F00DA
	s_add_i32 m0, m0, 0x240                                    // 000000003038: 817CFF7C 00000240
	s_mov_b32 s59, 0x1c0                                       // 000000003040: BEBB00FF 000001C0
	v_mov_b32_e32 v28, s59                                     // 000000003048: 7E38023B
	v_add_co_u32_e32 v218, vcc, s20, v32                       // 00000000304C: 33B44014
	v_addc_co_u32_e32 v219, vcc, v215, v192, vcc               // 000000003050: 39B781D7
	v_add_co_u32_e32 v218, vcc, v218, v28                      // 000000003054: 33B439DA
	v_addc_co_u32_e64 v219, vcc, v219, 0, vcc                  // 000000003058: D11C6ADB 01A901DB
	s_add_i32 m0, m0, s59                                      // 000000003060: 817C3B7C
	global_load_lds_dwordx4 v[218:219], off                    // 000000003064: DDF48000 007F00DA
	s_add_i32 m0, m0, 0x200                                    // 00000000306C: 817CFF7C 00000200
	s_mov_b32 s59, 0x200                                       // 000000003074: BEBB00FF 00000200
	v_mov_b32_e32 v28, s59                                     // 00000000307C: 7E38023B
	v_add_co_u32_e32 v218, vcc, s20, v32                       // 000000003080: 33B44014
	v_addc_co_u32_e32 v219, vcc, v215, v192, vcc               // 000000003084: 39B781D7
	v_add_co_u32_e32 v218, vcc, v218, v28                      // 000000003088: 33B439DA
	v_addc_co_u32_e64 v219, vcc, v219, 0, vcc                  // 00000000308C: D11C6ADB 01A901DB
	s_add_i32 m0, m0, s59                                      // 000000003094: 817C3B7C
	global_load_lds_dwordx4 v[218:219], off                    // 000000003098: DDF48000 007F00DA
	s_add_i32 m0, m0, 0x1c0                                    // 0000000030A0: 817CFF7C 000001C0
	s_waitcnt lgkmcnt(0)                                       // 0000000030A8: BF8CC07F
	s_mov_b32 m0, s55                                          // 0000000030AC: BEFC0037
	s_mov_b32 s59, 0                                           // 0000000030B0: BEBB0080
	v_mov_b32_e32 v28, s59                                     // 0000000030B4: 7E38023B
	v_add_co_u32_e32 v218, vcc, s20, v33                       // 0000000030B8: 33B44214
	v_addc_co_u32_e32 v219, vcc, v215, v193, vcc               // 0000000030BC: 39B783D7
	v_add_co_u32_e32 v218, vcc, v218, v28                      // 0000000030C0: 33B439DA
	v_addc_co_u32_e64 v219, vcc, v219, 0, vcc                  // 0000000030C4: D11C6ADB 01A901DB
	s_add_i32 m0, m0, s59                                      // 0000000030CC: 817C3B7C
	global_load_lds_dwordx4 v[218:219], off                    // 0000000030D0: DDF48000 007F00DA
	s_add_i32 m0, m0, 0x3c0                                    // 0000000030D8: 817CFF7C 000003C0
	s_mov_b32 s59, 64                                          // 0000000030E0: BEBB00C0
	v_mov_b32_e32 v28, s59                                     // 0000000030E4: 7E38023B
	v_add_co_u32_e32 v218, vcc, s20, v33                       // 0000000030E8: 33B44214
	v_addc_co_u32_e32 v219, vcc, v215, v193, vcc               // 0000000030EC: 39B783D7
	v_add_co_u32_e32 v218, vcc, v218, v28                      // 0000000030F0: 33B439DA
	v_addc_co_u32_e64 v219, vcc, v219, 0, vcc                  // 0000000030F4: D11C6ADB 01A901DB
	s_add_i32 m0, m0, s59                                      // 0000000030FC: 817C3B7C
	global_load_lds_dwordx4 v[218:219], off                    // 000000003100: DDF48000 007F00DA
	s_add_i32 m0, m0, 0x380                                    // 000000003108: 817CFF7C 00000380
	s_mov_b32 s59, 0x80                                        // 000000003110: BEBB00FF 00000080
	v_mov_b32_e32 v28, s59                                     // 000000003118: 7E38023B
	v_add_co_u32_e32 v218, vcc, s20, v33                       // 00000000311C: 33B44214
	v_addc_co_u32_e32 v219, vcc, v215, v193, vcc               // 000000003120: 39B783D7
	v_add_co_u32_e32 v218, vcc, v218, v28                      // 000000003124: 33B439DA
	v_addc_co_u32_e64 v219, vcc, v219, 0, vcc                  // 000000003128: D11C6ADB 01A901DB
	s_add_i32 m0, m0, s59                                      // 000000003130: 817C3B7C
	global_load_lds_dwordx4 v[218:219], off                    // 000000003134: DDF48000 007F00DA
	s_add_i32 m0, m0, 0x340                                    // 00000000313C: 817CFF7C 00000340
	s_mov_b32 s59, 0xc0                                        // 000000003144: BEBB00FF 000000C0
	v_mov_b32_e32 v28, s59                                     // 00000000314C: 7E38023B
	v_add_co_u32_e32 v218, vcc, s20, v33                       // 000000003150: 33B44214
	v_addc_co_u32_e32 v219, vcc, v215, v193, vcc               // 000000003154: 39B783D7
	v_add_co_u32_e32 v218, vcc, v218, v28                      // 000000003158: 33B439DA
	v_addc_co_u32_e64 v219, vcc, v219, 0, vcc                  // 00000000315C: D11C6ADB 01A901DB
	s_add_i32 m0, m0, s59                                      // 000000003164: 817C3B7C
	global_load_lds_dwordx4 v[218:219], off                    // 000000003168: DDF48000 007F00DA
	s_add_i32 m0, m0, 0x300                                    // 000000003170: 817CFF7C 00000300
	s_mov_b32 s59, 0x100                                       // 000000003178: BEBB00FF 00000100
	v_mov_b32_e32 v28, s59                                     // 000000003180: 7E38023B
	v_add_co_u32_e32 v218, vcc, s20, v33                       // 000000003184: 33B44214
	v_addc_co_u32_e32 v219, vcc, v215, v193, vcc               // 000000003188: 39B783D7
	v_add_co_u32_e32 v218, vcc, v218, v28                      // 00000000318C: 33B439DA
	v_addc_co_u32_e64 v219, vcc, v219, 0, vcc                  // 000000003190: D11C6ADB 01A901DB
	s_add_i32 m0, m0, s59                                      // 000000003198: 817C3B7C
	global_load_lds_dwordx4 v[218:219], off                    // 00000000319C: DDF48000 007F00DA
	s_add_i32 m0, m0, 0x2c0                                    // 0000000031A4: 817CFF7C 000002C0
	s_mov_b32 s59, 0x140                                       // 0000000031AC: BEBB00FF 00000140
	v_mov_b32_e32 v28, s59                                     // 0000000031B4: 7E38023B
	v_add_co_u32_e32 v218, vcc, s20, v33                       // 0000000031B8: 33B44214
	v_addc_co_u32_e32 v219, vcc, v215, v193, vcc               // 0000000031BC: 39B783D7
	v_add_co_u32_e32 v218, vcc, v218, v28                      // 0000000031C0: 33B439DA
	v_addc_co_u32_e64 v219, vcc, v219, 0, vcc                  // 0000000031C4: D11C6ADB 01A901DB
	s_add_i32 m0, m0, s59                                      // 0000000031CC: 817C3B7C
	global_load_lds_dwordx4 v[218:219], off                    // 0000000031D0: DDF48000 007F00DA
	s_add_i32 m0, m0, 0x280                                    // 0000000031D8: 817CFF7C 00000280
	s_mov_b32 s59, 0x180                                       // 0000000031E0: BEBB00FF 00000180
	v_mov_b32_e32 v28, s59                                     // 0000000031E8: 7E38023B
	v_add_co_u32_e32 v218, vcc, s20, v33                       // 0000000031EC: 33B44214
	v_addc_co_u32_e32 v219, vcc, v215, v193, vcc               // 0000000031F0: 39B783D7
	v_add_co_u32_e32 v218, vcc, v218, v28                      // 0000000031F4: 33B439DA
	v_addc_co_u32_e64 v219, vcc, v219, 0, vcc                  // 0000000031F8: D11C6ADB 01A901DB
	s_add_i32 m0, m0, s59                                      // 000000003200: 817C3B7C
	global_load_lds_dwordx4 v[218:219], off                    // 000000003204: DDF48000 007F00DA
	s_add_i32 m0, m0, 0x240                                    // 00000000320C: 817CFF7C 00000240
	s_mov_b32 s59, 0x1c0                                       // 000000003214: BEBB00FF 000001C0
	v_mov_b32_e32 v28, s59                                     // 00000000321C: 7E38023B
	v_add_co_u32_e32 v218, vcc, s20, v33                       // 000000003220: 33B44214
	v_addc_co_u32_e32 v219, vcc, v215, v193, vcc               // 000000003224: 39B783D7
	v_add_co_u32_e32 v218, vcc, v218, v28                      // 000000003228: 33B439DA
	v_addc_co_u32_e64 v219, vcc, v219, 0, vcc                  // 00000000322C: D11C6ADB 01A901DB
	s_add_i32 m0, m0, s59                                      // 000000003234: 817C3B7C
	global_load_lds_dwordx4 v[218:219], off                    // 000000003238: DDF48000 007F00DA
	s_add_i32 m0, m0, 0x200                                    // 000000003240: 817CFF7C 00000200
	s_mov_b32 s59, 0x200                                       // 000000003248: BEBB00FF 00000200
	v_mov_b32_e32 v28, s59                                     // 000000003250: 7E38023B
	v_add_co_u32_e32 v218, vcc, s20, v33                       // 000000003254: 33B44214
	v_addc_co_u32_e32 v219, vcc, v215, v193, vcc               // 000000003258: 39B783D7
	v_add_co_u32_e32 v218, vcc, v218, v28                      // 00000000325C: 33B439DA
	v_addc_co_u32_e64 v219, vcc, v219, 0, vcc                  // 000000003260: D11C6ADB 01A901DB
	s_add_i32 m0, m0, s59                                      // 000000003268: 817C3B7C
	global_load_lds_dwordx4 v[218:219], off                    // 00000000326C: DDF48000 007F00DA
	s_add_i32 m0, m0, 0x1c0                                    // 000000003274: 817CFF7C 000001C0
	s_waitcnt lgkmcnt(0)                                       // 00000000327C: BF8CC07F
	buffer_load_dword v24, v26, s[24:27], 0 offen              // 000000003280: E0501000 8006181A
	buffer_load_dword v25, v27, s[24:27], 0 offen              // 000000003288: E0501000 8006191B
	v_add_u32_e32 v26, s73, v26                                // 000000003290: 68343449
	v_add_u32_e32 v27, s73, v27                                // 000000003294: 68363649
	s_waitcnt lgkmcnt(0)                                       // 000000003298: BF8CC07F
	s_waitcnt vmcnt(2)                                         // 00000000329C: BF8C0F72
	s_barrier                                                  // 0000000032A0: BF8A0000
	s_waitcnt lgkmcnt(0)                                       // 0000000032A4: BF8CC07F
	ds_read_b64_tr_b8 a[120:121], v10                          // 0000000032A8: DBC40000 7800000A
	ds_read_b64_tr_b8 a[122:123], v11                          // 0000000032B0: DBC40000 7A00000B
	ds_read_b64_tr_b8 a[124:125], v10 offset:36864             // 0000000032B8: DBC49000 7C00000A
	ds_read_b64_tr_b8 a[126:127], v11 offset:36864             // 0000000032C0: DBC49000 7E00000B
	ds_read_b64_tr_b8 a[128:129], v10 offset:16                // 0000000032C8: DBC40010 8000000A
	ds_read_b64_tr_b8 a[130:131], v11 offset:16                // 0000000032D0: DBC40010 8200000B
	ds_read_b64_tr_b8 a[132:133], v10 offset:36880             // 0000000032D8: DBC49010 8400000A
	ds_read_b64_tr_b8 a[134:135], v11 offset:36880             // 0000000032E0: DBC49010 8600000B
	ds_read_b64_tr_b8 a[136:137], v12                          // 0000000032E8: DBC40000 8800000C
	ds_read_b64_tr_b8 a[138:139], v13                          // 0000000032F0: DBC40000 8A00000D
	ds_read_b64_tr_b8 a[140:141], v12 offset:36864             // 0000000032F8: DBC49000 8C00000C
	ds_read_b64_tr_b8 a[142:143], v13 offset:36864             // 000000003300: DBC49000 8E00000D
	ds_read_b64_tr_b8 a[144:145], v12 offset:16                // 000000003308: DBC40010 9000000C
	ds_read_b64_tr_b8 a[146:147], v13 offset:16                // 000000003310: DBC40010 9200000D
	ds_read_b64_tr_b8 a[148:149], v12 offset:36880             // 000000003318: DBC49010 9400000C
	ds_read_b64_tr_b8 a[150:151], v13 offset:36880             // 000000003320: DBC49010 9600000D
	ds_read_b64_tr_b8 a[152:153], v10 offset:1024              // 000000003328: DBC40400 9800000A
	ds_read_b64_tr_b8 a[154:155], v11 offset:1024              // 000000003330: DBC40400 9A00000B
	ds_read_b64_tr_b8 a[156:157], v10 offset:37888             // 000000003338: DBC49400 9C00000A
	ds_read_b64_tr_b8 a[158:159], v11 offset:37888             // 000000003340: DBC49400 9E00000B
	ds_read_b64_tr_b8 a[160:161], v10 offset:1040              // 000000003348: DBC40410 A000000A
	ds_read_b64_tr_b8 a[162:163], v11 offset:1040              // 000000003350: DBC40410 A200000B
	ds_read_b64_tr_b8 a[164:165], v10 offset:37904             // 000000003358: DBC49410 A400000A
	ds_read_b64_tr_b8 a[166:167], v11 offset:37904             // 000000003360: DBC49410 A600000B
	ds_read_b64_tr_b8 a[168:169], v12 offset:1024              // 000000003368: DBC40400 A800000C
	ds_read_b64_tr_b8 a[170:171], v13 offset:1024              // 000000003370: DBC40400 AA00000D
	ds_read_b64_tr_b8 a[172:173], v12 offset:37888             // 000000003378: DBC49400 AC00000C
	ds_read_b64_tr_b8 a[174:175], v13 offset:37888             // 000000003380: DBC49400 AE00000D
	ds_read_b64_tr_b8 a[176:177], v12 offset:1040              // 000000003388: DBC40410 B000000C
	ds_read_b64_tr_b8 a[178:179], v13 offset:1040              // 000000003390: DBC40410 B200000D
	ds_read_b64_tr_b8 a[180:181], v12 offset:37904             // 000000003398: DBC49410 B400000C
	ds_read_b64_tr_b8 a[182:183], v13 offset:37904             // 0000000033A0: DBC49410 B600000D
	ds_read_b128 a[40:43], v21                                 // 0000000033A8: DBFE0000 28000015
	ds_read_b128 a[44:47], v21 offset:1024                     // 0000000033B0: DBFE0400 2C000015
	ds_read_b128 a[48:51], v21 offset:2048                     // 0000000033B8: DBFE0800 30000015
	ds_read_b128 a[52:55], v21 offset:3072                     // 0000000033C0: DBFE0C00 34000015
	ds_read_b128 a[56:59], v21 offset:4096                     // 0000000033C8: DBFE1000 38000015
	ds_read_b128 a[60:63], v21 offset:5120                     // 0000000033D0: DBFE1400 3C000015
	ds_read_b128 a[64:67], v21 offset:6144                     // 0000000033D8: DBFE1800 40000015
	ds_read_b128 a[68:71], v21 offset:7168                     // 0000000033E0: DBFE1C00 44000015
	ds_read_b128 a[72:75], v21 offset:8192                     // 0000000033E8: DBFE2000 48000015
	s_cmp_lt_u32 s71, 1                                        // 0000000033F0: BF0A8147
	s_cbranch_scc1 label_354C                                  // 0000000033F4: BF850915
	s_cmp_lt_i32 s6, 2                                         // 0000000033F8: BF048206
	s_cbranch_scc0 label_2328                                  // 0000000033FC: BF84048A

0000000000003400 <label_1100>:
	s_waitcnt lgkmcnt(4)                                       // 000000003400: BF8CC47F
	v_mfma_f32_16x16x128_f8f6f4 v[38:41], a[40:47], a[0:7], 0  // 000000003404: D3AD0026 1A020128
	v_mul_u32_u24_e64 v32, v22, s68                            // 00000000340C: D1080020 00008916
	v_mul_u32_u24_e64 v33, v23, s68                            // 000000003414: D1080021 00008917
	v_mul_hi_u32 v192, v22, s68                                // 00000000341C: D28600C0 00008916
	v_mul_hi_u32 v193, v23, s68                                // 000000003424: D28600C1 00008917
	v_add_co_u32_e32 v32, vcc, v32, v1                         // 00000000342C: 32400320
	v_addc_co_u32_e64 v192, vcc, v192, 0, vcc                  // 000000003430: D11C6AC0 01A901C0
	v_add_co_u32_e32 v33, vcc, v33, v1                         // 000000003438: 32420321
	v_addc_co_u32_e64 v193, vcc, v193, 0, vcc                  // 00000000343C: D11C6AC1 01A901C1
	buffer_load_dword v22, v26, s[24:27], 0 offen              // 000000003444: E0501000 8006161A
	buffer_load_dword v23, v27, s[24:27], 0 offen              // 00000000344C: E0501000 8006171B
	ds_read_b128 a[80:83], v21 offset:9216                     // 000000003454: DBFE2400 50000015
	v_mfma_f32_16x16x128_f8f6f4 v[38:41], a[48:55], a[8:15], v[38:41]// 00000000345C: D3AD0026 1C9A1130
	s_mov_b32 m0, s56                                          // 000000003464: BEFC0038
	s_mov_b32 s59, 0                                           // 000000003468: BEBB0080
	v_mov_b32_e32 v28, s59                                     // 00000000346C: 7E38023B
	v_add_co_u32_e32 v218, vcc, s20, v32                       // 000000003470: 33B44014
	v_addc_co_u32_e32 v219, vcc, v215, v192, vcc               // 000000003474: 39B781D7
	v_add_co_u32_e32 v218, vcc, v218, v28                      // 000000003478: 33B439DA
	v_addc_co_u32_e64 v219, vcc, v219, 0, vcc                  // 00000000347C: D11C6ADB 01A901DB
	s_add_i32 m0, m0, s59                                      // 000000003484: 817C3B7C
	global_load_lds_dwordx4 v[218:219], off                    // 000000003488: DDF48000 007F00DA
	s_add_i32 m0, m0, 0x3c0                                    // 000000003490: 817CFF7C 000003C0
	s_waitcnt lgkmcnt(0)                                       // 000000003498: BF8CC07F
	v_mfma_f32_16x16x128_f8f6f4 v[38:41], a[56:63], a[16:23], v[38:41]// 00000000349C: D3AD0026 1C9A2138
	ds_read_b128 a[84:87], v21 offset:10240                    // 0000000034A4: DBFE2800 54000015
	v_mfma_f32_16x16x128_f8f6f4 v[38:41], a[64:71], a[24:31], v[38:41]// 0000000034AC: D3AD0026 1C9A3140
	s_mov_b32 s59, 64                                          // 0000000034B4: BEBB00C0
	v_mov_b32_e32 v28, s59                                     // 0000000034B8: 7E38023B
	v_add_co_u32_e32 v218, vcc, s20, v32                       // 0000000034BC: 33B44014
	v_addc_co_u32_e32 v219, vcc, v215, v192, vcc               // 0000000034C0: 39B781D7
	v_add_co_u32_e32 v218, vcc, v218, v28                      // 0000000034C4: 33B439DA
	v_addc_co_u32_e64 v219, vcc, v219, 0, vcc                  // 0000000034C8: D11C6ADB 01A901DB
	s_add_i32 m0, m0, s59                                      // 0000000034D0: 817C3B7C
	global_load_lds_dwordx4 v[218:219], off                    // 0000000034D4: DDF48000 007F00DA
	s_add_i32 m0, m0, 0x380                                    // 0000000034DC: 817CFF7C 00000380
	s_waitcnt lgkmcnt(0)                                       // 0000000034E4: BF8CC07F
	v_mfma_f32_16x16x128_f8f6f4 v[38:41], a[72:79], a[32:39], v[38:41]// 0000000034E8: D3AD0026 1C9A4148
	ds_read_b128 a[88:91], v21 offset:11264                    // 0000000034F0: DBFE2C00 58000015
	s_mov_b32 s59, 0x80                                        // 0000000034F8: BEBB00FF 00000080
	v_mov_b32_e32 v28, s59                                     // 000000003500: 7E38023B
	v_add_co_u32_e32 v218, vcc, s20, v32                       // 000000003504: 33B44014
	v_addc_co_u32_e32 v219, vcc, v215, v192, vcc               // 000000003508: 39B781D7
	v_add_co_u32_e32 v218, vcc, v218, v28                      // 00000000350C: 33B439DA
	v_addc_co_u32_e64 v219, vcc, v219, 0, vcc                  // 000000003510: D11C6ADB 01A901DB
	s_add_i32 m0, m0, s59                                      // 000000003518: 817C3B7C
	global_load_lds_dwordx4 v[218:219], off                    // 00000000351C: DDF48000 007F00DA
	s_add_i32 m0, m0, 0x340                                    // 000000003524: 817CFF7C 00000340
	s_mov_b32 s59, 0xc0                                        // 00000000352C: BEBB00FF 000000C0
	v_mov_b32_e32 v28, s59                                     // 000000003534: 7E38023B
	v_add_co_u32_e32 v218, vcc, s20, v32                       // 000000003538: 33B44014
	v_addc_co_u32_e32 v219, vcc, v215, v192, vcc               // 00000000353C: 39B781D7
	v_add_co_u32_e32 v218, vcc, v218, v28                      // 000000003540: 33B439DA
	v_addc_co_u32_e64 v219, vcc, v219, 0, vcc                  // 000000003544: D11C6ADB 01A901DB
	s_add_i32 m0, m0, s59                                      // 00000000354C: 817C3B7C
	global_load_lds_dwordx4 v[218:219], off                    // 000000003550: DDF48000 007F00DA
	s_add_i32 m0, m0, 0x300                                    // 000000003558: 817CFF7C 00000300
	s_mov_b32 s59, 0x100                                       // 000000003560: BEBB00FF 00000100
	v_mov_b32_e32 v28, s59                                     // 000000003568: 7E38023B
	v_add_co_u32_e32 v218, vcc, s20, v32                       // 00000000356C: 33B44014
	v_addc_co_u32_e32 v219, vcc, v215, v192, vcc               // 000000003570: 39B781D7
	v_add_co_u32_e32 v218, vcc, v218, v28                      // 000000003574: 33B439DA
	v_addc_co_u32_e64 v219, vcc, v219, 0, vcc                  // 000000003578: D11C6ADB 01A901DB
	s_add_i32 m0, m0, s59                                      // 000000003580: 817C3B7C
	global_load_lds_dwordx4 v[218:219], off                    // 000000003584: DDF48000 007F00DA
	s_add_i32 m0, m0, 0x2c0                                    // 00000000358C: 817CFF7C 000002C0
	s_mov_b32 s59, 0x140                                       // 000000003594: BEBB00FF 00000140
	v_mov_b32_e32 v28, s59                                     // 00000000359C: 7E38023B
	v_add_co_u32_e32 v218, vcc, s20, v32                       // 0000000035A0: 33B44014
	v_addc_co_u32_e32 v219, vcc, v215, v192, vcc               // 0000000035A4: 39B781D7
	v_add_co_u32_e32 v218, vcc, v218, v28                      // 0000000035A8: 33B439DA
	v_addc_co_u32_e64 v219, vcc, v219, 0, vcc                  // 0000000035AC: D11C6ADB 01A901DB
	s_add_i32 m0, m0, s59                                      // 0000000035B4: 817C3B7C
	global_load_lds_dwordx4 v[218:219], off                    // 0000000035B8: DDF48000 007F00DA
	s_add_i32 m0, m0, 0x280                                    // 0000000035C0: 817CFF7C 00000280
	s_mov_b32 s59, 0x180                                       // 0000000035C8: BEBB00FF 00000180
	v_mov_b32_e32 v28, s59                                     // 0000000035D0: 7E38023B
	v_add_co_u32_e32 v218, vcc, s20, v32                       // 0000000035D4: 33B44014
	v_addc_co_u32_e32 v219, vcc, v215, v192, vcc               // 0000000035D8: 39B781D7
	v_add_co_u32_e32 v218, vcc, v218, v28                      // 0000000035DC: 33B439DA
	v_addc_co_u32_e64 v219, vcc, v219, 0, vcc                  // 0000000035E0: D11C6ADB 01A901DB
	s_add_i32 m0, m0, s59                                      // 0000000035E8: 817C3B7C
	global_load_lds_dwordx4 v[218:219], off                    // 0000000035EC: DDF48000 007F00DA
	s_add_i32 m0, m0, 0x240                                    // 0000000035F4: 817CFF7C 00000240
	s_mov_b32 s59, 0x1c0                                       // 0000000035FC: BEBB00FF 000001C0
	v_mov_b32_e32 v28, s59                                     // 000000003604: 7E38023B
	v_add_co_u32_e32 v218, vcc, s20, v32                       // 000000003608: 33B44014
	v_addc_co_u32_e32 v219, vcc, v215, v192, vcc               // 00000000360C: 39B781D7
	v_add_co_u32_e32 v218, vcc, v218, v28                      // 000000003610: 33B439DA
	v_addc_co_u32_e64 v219, vcc, v219, 0, vcc                  // 000000003614: D11C6ADB 01A901DB
	s_add_i32 m0, m0, s59                                      // 00000000361C: 817C3B7C
	global_load_lds_dwordx4 v[218:219], off                    // 000000003620: DDF48000 007F00DA
	s_add_i32 m0, m0, 0x200                                    // 000000003628: 817CFF7C 00000200
	s_mov_b32 s59, 0x200                                       // 000000003630: BEBB00FF 00000200
	v_mov_b32_e32 v28, s59                                     // 000000003638: 7E38023B
	v_add_co_u32_e32 v218, vcc, s20, v32                       // 00000000363C: 33B44014
	v_addc_co_u32_e32 v219, vcc, v215, v192, vcc               // 000000003640: 39B781D7
	v_add_co_u32_e32 v218, vcc, v218, v28                      // 000000003644: 33B439DA
	v_addc_co_u32_e64 v219, vcc, v219, 0, vcc                  // 000000003648: D11C6ADB 01A901DB
	s_add_i32 m0, m0, s59                                      // 000000003650: 817C3B7C
	global_load_lds_dwordx4 v[218:219], off                    // 000000003654: DDF48000 007F00DA
	s_add_i32 m0, m0, 0x1c0                                    // 00000000365C: 817CFF7C 000001C0
	s_waitcnt lgkmcnt(0)                                       // 000000003664: BF8CC07F
	ds_read_b128 a[92:95], v21 offset:12288                    // 000000003668: DBFE3000 5C000015
	ds_read_b128 a[96:99], v21 offset:13312                    // 000000003670: DBFE3400 60000015
	ds_read_b128 a[100:103], v21 offset:14336                  // 000000003678: DBFE3800 64000015
	ds_read_b128 a[104:107], v21 offset:15360                  // 000000003680: DBFE3C00 68000015
	ds_read_b128 a[108:111], v21 offset:16384                  // 000000003688: DBFE4000 6C000015
	ds_read_b128 a[112:115], v21 offset:17408                  // 000000003690: DBFE4400 70000015
	v_add_u32_e32 v26, s73, v26                                // 000000003698: 68343449
	v_add_u32_e32 v27, s73, v27                                // 00000000369C: 68363649
	s_waitcnt lgkmcnt(0)                                       // 0000000036A0: BF8CC07F
	v_mfma_f32_16x16x128_f8f6f4 v[42:45], a[80:87], a[0:7], 0  // 0000000036A4: D3AD002A 1A020150
	s_mov_b32 m0, s57                                          // 0000000036AC: BEFC0039
	s_mov_b32 s59, 0                                           // 0000000036B0: BEBB0080
	v_mov_b32_e32 v28, s59                                     // 0000000036B4: 7E38023B
	v_add_co_u32_e32 v218, vcc, s20, v33                       // 0000000036B8: 33B44214
	v_addc_co_u32_e32 v219, vcc, v215, v193, vcc               // 0000000036BC: 39B783D7
	v_add_co_u32_e32 v218, vcc, v218, v28                      // 0000000036C0: 33B439DA
	v_addc_co_u32_e64 v219, vcc, v219, 0, vcc                  // 0000000036C4: D11C6ADB 01A901DB
	s_add_i32 m0, m0, s59                                      // 0000000036CC: 817C3B7C
	global_load_lds_dwordx4 v[218:219], off                    // 0000000036D0: DDF48000 007F00DA
	s_add_i32 m0, m0, 0x3c0                                    // 0000000036D8: 817CFF7C 000003C0
	s_waitcnt lgkmcnt(0)                                       // 0000000036E0: BF8CC07F
	v_mfma_f32_16x16x128_f8f6f4 v[42:45], a[88:95], a[8:15], v[42:45]// 0000000036E4: D3AD002A 1CAA1158
	v_mfma_f32_16x16x128_f8f6f4 v[42:45], a[96:103], a[16:23], v[42:45]// 0000000036EC: D3AD002A 1CAA2160
	s_mov_b32 m0, s57                                          // 0000000036F4: BEFC0039
	s_mov_b32 s59, 0                                           // 0000000036F8: BEBB0080
	v_mov_b32_e32 v28, s59                                     // 0000000036FC: 7E38023B
	v_add_co_u32_e32 v218, vcc, s20, v33                       // 000000003700: 33B44214
	v_addc_co_u32_e32 v219, vcc, v215, v193, vcc               // 000000003704: 39B783D7
	v_add_co_u32_e32 v218, vcc, v218, v28                      // 000000003708: 33B439DA
	v_addc_co_u32_e64 v219, vcc, v219, 0, vcc                  // 00000000370C: D11C6ADB 01A901DB
	s_add_i32 m0, m0, s59                                      // 000000003714: 817C3B7C
	global_load_lds_dwordx4 v[218:219], off                    // 000000003718: DDF48000 007F00DA
	s_add_i32 m0, m0, 0x3c0                                    // 000000003720: 817CFF7C 000003C0
	s_waitcnt lgkmcnt(0)                                       // 000000003728: BF8CC07F
	v_mfma_f32_16x16x128_f8f6f4 v[42:45], a[104:111], a[24:31], v[42:45]// 00000000372C: D3AD002A 1CAA3168
	v_mfma_f32_16x16x128_f8f6f4 v[42:45], a[112:119], a[32:39], v[42:45]// 000000003734: D3AD002A 1CAA4170
	s_mov_b32 m0, s57                                          // 00000000373C: BEFC0039
	s_mov_b32 s59, 0                                           // 000000003740: BEBB0080
	v_mov_b32_e32 v28, s59                                     // 000000003744: 7E38023B
	v_add_co_u32_e32 v218, vcc, s20, v33                       // 000000003748: 33B44214
	v_addc_co_u32_e32 v219, vcc, v215, v193, vcc               // 00000000374C: 39B783D7
	v_add_co_u32_e32 v218, vcc, v218, v28                      // 000000003750: 33B439DA
	v_addc_co_u32_e64 v219, vcc, v219, 0, vcc                  // 000000003754: D11C6ADB 01A901DB
	s_add_i32 m0, m0, s59                                      // 00000000375C: 817C3B7C
	global_load_lds_dwordx4 v[218:219], off                    // 000000003760: DDF48000 007F00DA
	s_add_i32 m0, m0, 0x3c0                                    // 000000003768: 817CFF7C 000003C0
	s_waitcnt lgkmcnt(0)                                       // 000000003770: BF8CC07F
	s_mov_b32 m0, s57                                          // 000000003774: BEFC0039
	s_mov_b32 s59, 0                                           // 000000003778: BEBB0080
	v_mov_b32_e32 v28, s59                                     // 00000000377C: 7E38023B
	v_add_co_u32_e32 v218, vcc, s20, v33                       // 000000003780: 33B44214
	v_addc_co_u32_e32 v219, vcc, v215, v193, vcc               // 000000003784: 39B783D7
	v_add_co_u32_e32 v218, vcc, v218, v28                      // 000000003788: 33B439DA
	v_addc_co_u32_e64 v219, vcc, v219, 0, vcc                  // 00000000378C: D11C6ADB 01A901DB
	s_add_i32 m0, m0, s59                                      // 000000003794: 817C3B7C
	global_load_lds_dwordx4 v[218:219], off                    // 000000003798: DDF48000 007F00DA
	s_add_i32 m0, m0, 0x3c0                                    // 0000000037A0: 817CFF7C 000003C0
	s_mov_b32 s59, 64                                          // 0000000037A8: BEBB00C0
	v_mov_b32_e32 v28, s59                                     // 0000000037AC: 7E38023B
	v_add_co_u32_e32 v218, vcc, s20, v33                       // 0000000037B0: 33B44214
	v_addc_co_u32_e32 v219, vcc, v215, v193, vcc               // 0000000037B4: 39B783D7
	v_add_co_u32_e32 v218, vcc, v218, v28                      // 0000000037B8: 33B439DA
	v_addc_co_u32_e64 v219, vcc, v219, 0, vcc                  // 0000000037BC: D11C6ADB 01A901DB
	s_add_i32 m0, m0, s59                                      // 0000000037C4: 817C3B7C
	global_load_lds_dwordx4 v[218:219], off                    // 0000000037C8: DDF48000 007F00DA
	s_add_i32 m0, m0, 0x380                                    // 0000000037D0: 817CFF7C 00000380
	s_mov_b32 s59, 0x80                                        // 0000000037D8: BEBB00FF 00000080
	v_mov_b32_e32 v28, s59                                     // 0000000037E0: 7E38023B
	v_add_co_u32_e32 v218, vcc, s20, v33                       // 0000000037E4: 33B44214
	v_addc_co_u32_e32 v219, vcc, v215, v193, vcc               // 0000000037E8: 39B783D7
	v_add_co_u32_e32 v218, vcc, v218, v28                      // 0000000037EC: 33B439DA
	v_addc_co_u32_e64 v219, vcc, v219, 0, vcc                  // 0000000037F0: D11C6ADB 01A901DB
	s_add_i32 m0, m0, s59                                      // 0000000037F8: 817C3B7C
	global_load_lds_dwordx4 v[218:219], off                    // 0000000037FC: DDF48000 007F00DA
	s_add_i32 m0, m0, 0x340                                    // 000000003804: 817CFF7C 00000340
	s_mov_b32 s59, 0xc0                                        // 00000000380C: BEBB00FF 000000C0
	v_mov_b32_e32 v28, s59                                     // 000000003814: 7E38023B
	v_add_co_u32_e32 v218, vcc, s20, v33                       // 000000003818: 33B44214
	v_addc_co_u32_e32 v219, vcc, v215, v193, vcc               // 00000000381C: 39B783D7
	v_add_co_u32_e32 v218, vcc, v218, v28                      // 000000003820: 33B439DA
	v_addc_co_u32_e64 v219, vcc, v219, 0, vcc                  // 000000003824: D11C6ADB 01A901DB
	s_add_i32 m0, m0, s59                                      // 00000000382C: 817C3B7C
	global_load_lds_dwordx4 v[218:219], off                    // 000000003830: DDF48000 007F00DA
	s_add_i32 m0, m0, 0x300                                    // 000000003838: 817CFF7C 00000300
	s_mov_b32 s59, 0x100                                       // 000000003840: BEBB00FF 00000100
	v_mov_b32_e32 v28, s59                                     // 000000003848: 7E38023B
	v_add_co_u32_e32 v218, vcc, s20, v33                       // 00000000384C: 33B44214
	v_addc_co_u32_e32 v219, vcc, v215, v193, vcc               // 000000003850: 39B783D7
	v_add_co_u32_e32 v218, vcc, v218, v28                      // 000000003854: 33B439DA
	v_addc_co_u32_e64 v219, vcc, v219, 0, vcc                  // 000000003858: D11C6ADB 01A901DB
	s_add_i32 m0, m0, s59                                      // 000000003860: 817C3B7C
	global_load_lds_dwordx4 v[218:219], off                    // 000000003864: DDF48000 007F00DA
	s_add_i32 m0, m0, 0x2c0                                    // 00000000386C: 817CFF7C 000002C0
	s_mov_b32 s59, 0x140                                       // 000000003874: BEBB00FF 00000140
	v_mov_b32_e32 v28, s59                                     // 00000000387C: 7E38023B
	v_add_co_u32_e32 v218, vcc, s20, v33                       // 000000003880: 33B44214
	v_addc_co_u32_e32 v219, vcc, v215, v193, vcc               // 000000003884: 39B783D7
	v_add_co_u32_e32 v218, vcc, v218, v28                      // 000000003888: 33B439DA
	v_addc_co_u32_e64 v219, vcc, v219, 0, vcc                  // 00000000388C: D11C6ADB 01A901DB
	s_add_i32 m0, m0, s59                                      // 000000003894: 817C3B7C
	global_load_lds_dwordx4 v[218:219], off                    // 000000003898: DDF48000 007F00DA
	s_add_i32 m0, m0, 0x280                                    // 0000000038A0: 817CFF7C 00000280
	s_mov_b32 s59, 0x180                                       // 0000000038A8: BEBB00FF 00000180
	v_mov_b32_e32 v28, s59                                     // 0000000038B0: 7E38023B
	v_add_co_u32_e32 v218, vcc, s20, v33                       // 0000000038B4: 33B44214
	v_addc_co_u32_e32 v219, vcc, v215, v193, vcc               // 0000000038B8: 39B783D7
	v_add_co_u32_e32 v218, vcc, v218, v28                      // 0000000038BC: 33B439DA
	v_addc_co_u32_e64 v219, vcc, v219, 0, vcc                  // 0000000038C0: D11C6ADB 01A901DB
	s_add_i32 m0, m0, s59                                      // 0000000038C8: 817C3B7C
	global_load_lds_dwordx4 v[218:219], off                    // 0000000038CC: DDF48000 007F00DA
	s_add_i32 m0, m0, 0x240                                    // 0000000038D4: 817CFF7C 00000240
	s_mov_b32 s59, 0x1c0                                       // 0000000038DC: BEBB00FF 000001C0
	v_mov_b32_e32 v28, s59                                     // 0000000038E4: 7E38023B
	v_add_co_u32_e32 v218, vcc, s20, v33                       // 0000000038E8: 33B44214
	v_addc_co_u32_e32 v219, vcc, v215, v193, vcc               // 0000000038EC: 39B783D7
	v_add_co_u32_e32 v218, vcc, v218, v28                      // 0000000038F0: 33B439DA
	v_addc_co_u32_e64 v219, vcc, v219, 0, vcc                  // 0000000038F4: D11C6ADB 01A901DB
	s_add_i32 m0, m0, s59                                      // 0000000038FC: 817C3B7C
	global_load_lds_dwordx4 v[218:219], off                    // 000000003900: DDF48000 007F00DA
	s_add_i32 m0, m0, 0x200                                    // 000000003908: 817CFF7C 00000200
	s_mov_b32 s59, 0x200                                       // 000000003910: BEBB00FF 00000200
	v_mov_b32_e32 v28, s59                                     // 000000003918: 7E38023B
	v_add_co_u32_e32 v218, vcc, s20, v33                       // 00000000391C: 33B44214
	v_addc_co_u32_e32 v219, vcc, v215, v193, vcc               // 000000003920: 39B783D7
	v_add_co_u32_e32 v218, vcc, v218, v28                      // 000000003924: 33B439DA
	v_addc_co_u32_e64 v219, vcc, v219, 0, vcc                  // 000000003928: D11C6ADB 01A901DB
	s_add_i32 m0, m0, s59                                      // 000000003930: 817C3B7C
	global_load_lds_dwordx4 v[218:219], off                    // 000000003934: DDF48000 007F00DA
	s_add_i32 m0, m0, 0x1c0                                    // 00000000393C: 817CFF7C 000001C0
	s_waitcnt lgkmcnt(0)                                       // 000000003944: BF8CC07F
	s_nop 2                                                    // 000000003948: BF800002
	v_mov_b32_e32 v29, v38                                     // 00000000394C: 7E3A0326
	v_max3_f32 v29, v38, v39, v29                              // 000000003950: D1D3001D 04764F26
	v_max3_f32 v29, v40, v41, v29                              // 000000003958: D1D3001D 04765328
	v_max3_f32 v29, v42, v43, v29                              // 000000003960: D1D3001D 0476572A
	v_max3_f32 v29, v44, v45, v29                              // 000000003968: D1D3001D 04765B2C
	v_mov_b32_e32 v28, v29                                     // 000000003970: 7E38031D
	v_mov_b32_e32 v29, v29                                     // 000000003974: 7E3A031D
	s_nop 1                                                    // 000000003978: BF800001
	v_permlane16_swap_b32_e32 v28, v29                         // 00000000397C: 7E38B31D
	v_mov_b32_e32 v31, v28                                     // 000000003980: 7E3E031C
	v_mov_b32_e32 v30, v29                                     // 000000003984: 7E3C031D
	s_nop 1                                                    // 000000003988: BF800001
	v_permlane32_swap_b32_e32 v28, v29                         // 00000000398C: 7E38B51D
	v_permlane32_swap_b32_e32 v30, v31                         // 000000003990: 7E3CB51F
	v_max3_f32 v29, v28, v29, v29                              // 000000003994: D1D3001D 04763B1C
	v_max3_f32 v29, v30, v31, v29                              // 00000000399C: D1D3001D 04763F1E
	ds_write_b32 v36, v29                                      // 0000000039A4: D81A0000 00001D24
	s_waitcnt lgkmcnt(0)                                       // 0000000039AC: BF8CC07F
	s_barrier                                                  // 0000000039B0: BF8A0000
	ds_read_b32 v46, v37                                       // 0000000039B4: D86C0000 2E000025
	ds_read_b32 v47, v37 offset:256                            // 0000000039BC: D86C0100 2F000025
	ds_read_b32 v48, v37 offset:512                            // 0000000039C4: D86C0200 30000025
	ds_read_b32 v49, v37 offset:768                            // 0000000039CC: D86C0300 31000025
	s_waitcnt lgkmcnt(0)                                       // 0000000039D4: BF8CC07F
	v_max3_f32 v29, v46, v47, v29                              // 0000000039D8: D1D3001D 04765F2E
	v_max3_f32 v29, v48, v49, v29                              // 0000000039E0: D1D3001D 04766330
	v_mov_b32_e32 v28, 0xff800000                              // 0000000039E8: 7E3802FF FF800000
	v_cmp_eq_u32_e64 s[36:37], v28, v2                         // 0000000039F0: D0CA0024 0002051C
	v_max_f32_e32 v29, v29, v2                                 // 0000000039F8: 163A051D
	v_sub_f32_e32 v18, v2, v29                                 // 0000000039FC: 04243B02
	v_cndmask_b32_e64 v18, v18, 0, s[36:37]                    // 000000003A00: D1000012 00910112
	v_mov_b32_e32 v2, v29                                      // 000000003A08: 7E04031D
	v_mul_f32_e32 v29, s96, v29                                // 000000003A0C: 0A3A3A60
	v_mul_f32_e32 v18, s96, v18                                // 000000003A10: 0A242460
	v_exp_f32_e32 v18, v18                                     // 000000003A14: 7E244112
	v_add_f32_e64 v30, 0, -v29                                 // 000000003A18: D101001E 40023A80
	v_mov_b32_e32 v31, v30                                     // 000000003A20: 7E3E031E
	v_pk_fma_f32 v[38:39], v[38:39], s[96:97], v[30:31]        // 000000003A24: D3B04026 1C78C126
	v_pk_fma_f32 v[40:41], v[40:41], s[96:97], v[30:31]        // 000000003A2C: D3B04028 1C78C128
	v_pk_fma_f32 v[42:43], v[42:43], s[96:97], v[30:31]        // 000000003A34: D3B0402A 1C78C12A
	v_pk_fma_f32 v[44:45], v[44:45], s[96:97], v[30:31]        // 000000003A3C: D3B0402C 1C78C12C
	v_exp_f32_e32 v38, v38                                     // 000000003A44: 7E4C4126
	v_exp_f32_e32 v39, v39                                     // 000000003A48: 7E4E4127
	v_exp_f32_e32 v40, v40                                     // 000000003A4C: 7E504128
	v_exp_f32_e32 v41, v41                                     // 000000003A50: 7E524129
	v_exp_f32_e32 v42, v42                                     // 000000003A54: 7E54412A
	v_exp_f32_e32 v43, v43                                     // 000000003A58: 7E56412B
	v_exp_f32_e32 v44, v44                                     // 000000003A5C: 7E58412C
	v_exp_f32_e32 v45, v45                                     // 000000003A60: 7E5A412D
	v_mul_f32_e32 v4, v18, v4                                  // 000000003A64: 0A080912
	v_mov_b32_e32 v28, v38                                     // 000000003A68: 7E380326
	v_add_f32_e32 v28, v39, v28                                // 000000003A6C: 02383927
	v_add_f32_e32 v28, v40, v28                                // 000000003A70: 02383928
	v_add_f32_e32 v28, v41, v28                                // 000000003A74: 02383929
	v_add_f32_e32 v28, v42, v28                                // 000000003A78: 0238392A
	v_add_f32_e32 v28, v43, v28                                // 000000003A7C: 0238392B
	v_add_f32_e32 v28, v44, v28                                // 000000003A80: 0238392C
	v_add_f32_e32 v28, v45, v28                                // 000000003A84: 0238392D
	v_add_f32_e32 v4, v28, v4                                  // 000000003A88: 0208091C
	v_cvt_pk_fp8_f32 v38, v38, v39                             // 000000003A8C: D2A20026 00024F26
	v_cvt_pk_fp8_f32 v38, v40, v41 op_sel:[0,0,1]              // 000000003A94: D2A24026 00025328
	v_cvt_pk_fp8_f32 v39, v42, v43                             // 000000003A9C: D2A20027 0002572A
	v_cvt_pk_fp8_f32 v39, v44, v45 op_sel:[0,0,1]              // 000000003AA4: D2A24027 00025B2C
	s_nop 0                                                    // 000000003AAC: BF800000
	v_permlane16_swap_b32_e32 v38, v39                         // 000000003AB0: 7E4CB327
	ds_write_b64 v34, v[38:39]                                 // 000000003AB4: D89A0000 00002622
	s_waitcnt lgkmcnt(0)                                       // 000000003ABC: BF8CC07F
	s_barrier                                                  // 000000003AC0: BF8A0000
	ds_read_b64 v[38:39], v35                                  // 000000003AC4: D8EC0000 26000023
	ds_read_b64 v[40:41], v35 offset:256                       // 000000003ACC: D8EC0100 28000023
	ds_read_b64 v[42:43], v35 offset:1024                      // 000000003AD4: D8EC0400 2A000023
	ds_read_b64 v[44:45], v35 offset:1280                      // 000000003ADC: D8EC0500 2C000023
	v_mul_f32_e32 v70, v18, v70                                // 000000003AE4: 0A8C8D12
	v_mul_f32_e32 v71, v18, v71                                // 000000003AE8: 0A8E8F12
	v_mul_f32_e32 v72, v18, v72                                // 000000003AEC: 0A909112
	v_mul_f32_e32 v73, v18, v73                                // 000000003AF0: 0A929312
	v_mul_f32_e32 v74, v18, v74                                // 000000003AF4: 0A949512
	v_mul_f32_e32 v75, v18, v75                                // 000000003AF8: 0A969712
	v_mul_f32_e32 v76, v18, v76                                // 000000003AFC: 0A989912
	v_mul_f32_e32 v77, v18, v77                                // 000000003B00: 0A9A9B12
	v_mul_f32_e32 v78, v18, v78                                // 000000003B04: 0A9C9D12
	v_mul_f32_e32 v79, v18, v79                                // 000000003B08: 0A9E9F12
	v_mul_f32_e32 v80, v18, v80                                // 000000003B0C: 0AA0A112
	v_mul_f32_e32 v81, v18, v81                                // 000000003B10: 0AA2A312
	v_mul_f32_e32 v82, v18, v82                                // 000000003B14: 0AA4A512
	v_mul_f32_e32 v83, v18, v83                                // 000000003B18: 0AA6A712
	v_mul_f32_e32 v84, v18, v84                                // 000000003B1C: 0AA8A912
	v_mul_f32_e32 v85, v18, v85                                // 000000003B20: 0AAAAB12
	v_mul_f32_e32 v86, v18, v86                                // 000000003B24: 0AACAD12
	v_mul_f32_e32 v87, v18, v87                                // 000000003B28: 0AAEAF12
	v_mul_f32_e32 v88, v18, v88                                // 000000003B2C: 0AB0B112
	v_mul_f32_e32 v89, v18, v89                                // 000000003B30: 0AB2B312
	v_mul_f32_e32 v90, v18, v90                                // 000000003B34: 0AB4B512
	v_mul_f32_e32 v91, v18, v91                                // 000000003B38: 0AB6B712
	v_mul_f32_e32 v92, v18, v92                                // 000000003B3C: 0AB8B912
	v_mul_f32_e32 v93, v18, v93                                // 000000003B40: 0ABABB12
	v_mul_f32_e32 v94, v18, v94                                // 000000003B44: 0ABCBD12
	v_mul_f32_e32 v95, v18, v95                                // 000000003B48: 0ABEBF12
	v_mul_f32_e32 v96, v18, v96                                // 000000003B4C: 0AC0C112
	v_mul_f32_e32 v97, v18, v97                                // 000000003B50: 0AC2C312
	v_mul_f32_e32 v98, v18, v98                                // 000000003B54: 0AC4C512
	v_mul_f32_e32 v99, v18, v99                                // 000000003B58: 0AC6C712
	v_mul_f32_e32 v100, v18, v100                              // 000000003B5C: 0AC8C912
	v_mul_f32_e32 v101, v18, v101                              // 000000003B60: 0ACACB12
	s_waitcnt lgkmcnt(0)                                       // 000000003B64: BF8CC07F
	v_mfma_f32_16x16x128_f8f6f4 v[70:73], a[120:127], v[38:45], v[70:73]// 000000003B68: D3AD0046 0D1A4D78
	v_mfma_f32_16x16x128_f8f6f4 v[74:77], a[128:135], v[38:45], v[74:77]// 000000003B70: D3AD004A 0D2A4D80
	v_mfma_f32_16x16x128_f8f6f4 v[78:81], a[136:143], v[38:45], v[78:81]// 000000003B78: D3AD004E 0D3A4D88
	v_mfma_f32_16x16x128_f8f6f4 v[82:85], a[144:151], v[38:45], v[82:85]// 000000003B80: D3AD0052 0D4A4D90
	v_mfma_f32_16x16x128_f8f6f4 v[86:89], a[152:159], v[38:45], v[86:89]// 000000003B88: D3AD0056 0D5A4D98
	v_mfma_f32_16x16x128_f8f6f4 v[90:93], a[160:167], v[38:45], v[90:93]// 000000003B90: D3AD005A 0D6A4DA0
	v_mfma_f32_16x16x128_f8f6f4 v[94:97], a[168:175], v[38:45], v[94:97]// 000000003B98: D3AD005E 0D7A4DA8
	v_mfma_f32_16x16x128_f8f6f4 v[98:101], a[176:183], v[38:45], v[98:101]// 000000003BA0: D3AD0062 0D8A4DB0
	s_waitcnt lgkmcnt(0)                                       // 000000003BA8: BF8CC07F
	s_waitcnt vmcnt(2)                                         // 000000003BAC: BF8C0F72
	s_barrier                                                  // 000000003BB0: BF8A0000
	ds_read_b64_tr_b8 a[120:121], v6                           // 000000003BB4: DBC40000 78000006
	ds_read_b64_tr_b8 a[122:123], v7                           // 000000003BBC: DBC40000 7A000007
	ds_read_b64_tr_b8 a[124:125], v6 offset:36864              // 000000003BC4: DBC49000 7C000006
	ds_read_b64_tr_b8 a[126:127], v7 offset:36864              // 000000003BCC: DBC49000 7E000007
	ds_read_b64_tr_b8 a[128:129], v6 offset:16                 // 000000003BD4: DBC40010 80000006
	ds_read_b64_tr_b8 a[130:131], v7 offset:16                 // 000000003BDC: DBC40010 82000007
	ds_read_b64_tr_b8 a[132:133], v6 offset:36880              // 000000003BE4: DBC49010 84000006
	ds_read_b64_tr_b8 a[134:135], v7 offset:36880              // 000000003BEC: DBC49010 86000007
	ds_read_b64_tr_b8 a[136:137], v8                           // 000000003BF4: DBC40000 88000008
	ds_read_b64_tr_b8 a[138:139], v9                           // 000000003BFC: DBC40000 8A000009
	ds_read_b64_tr_b8 a[140:141], v8 offset:36864              // 000000003C04: DBC49000 8C000008
	ds_read_b64_tr_b8 a[142:143], v9 offset:36864              // 000000003C0C: DBC49000 8E000009
	ds_read_b64_tr_b8 a[144:145], v8 offset:16                 // 000000003C14: DBC40010 90000008
	ds_read_b64_tr_b8 a[146:147], v9 offset:16                 // 000000003C1C: DBC40010 92000009
	ds_read_b64_tr_b8 a[148:149], v8 offset:36880              // 000000003C24: DBC49010 94000008
	ds_read_b64_tr_b8 a[150:151], v9 offset:36880              // 000000003C2C: DBC49010 96000009
	ds_read_b64_tr_b8 a[152:153], v6 offset:1024               // 000000003C34: DBC40400 98000006
	ds_read_b64_tr_b8 a[154:155], v7 offset:1024               // 000000003C3C: DBC40400 9A000007
	ds_read_b64_tr_b8 a[156:157], v6 offset:37888              // 000000003C44: DBC49400 9C000006
	ds_read_b64_tr_b8 a[158:159], v7 offset:37888              // 000000003C4C: DBC49400 9E000007
	ds_read_b64_tr_b8 a[160:161], v6 offset:1040               // 000000003C54: DBC40410 A0000006
	ds_read_b64_tr_b8 a[162:163], v7 offset:1040               // 000000003C5C: DBC40410 A2000007
	ds_read_b64_tr_b8 a[164:165], v6 offset:37904              // 000000003C64: DBC49410 A4000006
	ds_read_b64_tr_b8 a[166:167], v7 offset:37904              // 000000003C6C: DBC49410 A6000007
	ds_read_b64_tr_b8 a[168:169], v8 offset:1024               // 000000003C74: DBC40400 A8000008
	ds_read_b64_tr_b8 a[170:171], v9 offset:1024               // 000000003C7C: DBC40400 AA000009
	ds_read_b64_tr_b8 a[172:173], v8 offset:37888              // 000000003C84: DBC49400 AC000008
	ds_read_b64_tr_b8 a[174:175], v9 offset:37888              // 000000003C8C: DBC49400 AE000009
	ds_read_b64_tr_b8 a[176:177], v8 offset:1040               // 000000003C94: DBC40410 B0000008
	ds_read_b64_tr_b8 a[178:179], v9 offset:1040               // 000000003C9C: DBC40410 B2000009
	ds_read_b64_tr_b8 a[180:181], v8 offset:37904              // 000000003CA4: DBC49410 B4000008
	ds_read_b64_tr_b8 a[182:183], v9 offset:37904              // 000000003CAC: DBC49410 B6000009
	s_waitcnt lgkmcnt(0)                                       // 000000003CB4: BF8CC07F
	ds_read_b128 a[40:43], v20                                 // 000000003CB8: DBFE0000 28000014
	ds_read_b128 a[44:47], v20 offset:1024                     // 000000003CC0: DBFE0400 2C000014
	ds_read_b128 a[48:51], v20 offset:2048                     // 000000003CC8: DBFE0800 30000014
	ds_read_b128 a[52:55], v20 offset:3072                     // 000000003CD0: DBFE0C00 34000014
	ds_read_b128 a[56:59], v20 offset:4096                     // 000000003CD8: DBFE1000 38000014
	ds_read_b128 a[60:63], v20 offset:5120                     // 000000003CE0: DBFE1400 3C000014
	ds_read_b128 a[64:67], v20 offset:6144                     // 000000003CE8: DBFE1800 40000014
	ds_read_b128 a[68:71], v20 offset:7168                     // 000000003CF0: DBFE1C00 44000014
	ds_read_b128 a[72:75], v20 offset:8192                     // 000000003CF8: DBFE2000 48000014
	s_addk_i32 s70, 0x1                                        // 000000003D00: B7460001
	s_cmp_lt_i32 s70, s71                                      // 000000003D04: BF044746
	s_cbranch_scc0 label_231C                                  // 000000003D08: BF840244
	s_waitcnt lgkmcnt(4)                                       // 000000003D0C: BF8CC47F
	v_mfma_f32_16x16x128_f8f6f4 v[38:41], a[40:47], a[0:7], 0  // 000000003D10: D3AD0026 1A020128
	v_mul_u32_u24_e64 v32, v24, s68                            // 000000003D18: D1080020 00008918
	v_mul_u32_u24_e64 v33, v25, s68                            // 000000003D20: D1080021 00008919
	v_mul_hi_u32 v192, v24, s68                                // 000000003D28: D28600C0 00008918
	v_mul_hi_u32 v193, v25, s68                                // 000000003D30: D28600C1 00008919
	v_add_co_u32_e32 v32, vcc, v32, v1                         // 000000003D38: 32400320
	v_addc_co_u32_e64 v192, vcc, v192, 0, vcc                  // 000000003D3C: D11C6AC0 01A901C0
	v_add_co_u32_e32 v33, vcc, v33, v1                         // 000000003D44: 32420321
	v_addc_co_u32_e64 v193, vcc, v193, 0, vcc                  // 000000003D48: D11C6AC1 01A901C1
	buffer_load_dword v24, v26, s[24:27], 0 offen              // 000000003D50: E0501000 8006181A
	buffer_load_dword v25, v27, s[24:27], 0 offen              // 000000003D58: E0501000 8006191B
	ds_read_b128 a[80:83], v20 offset:9216                     // 000000003D60: DBFE2400 50000014
	v_mfma_f32_16x16x128_f8f6f4 v[38:41], a[48:55], a[8:15], v[38:41]// 000000003D68: D3AD0026 1C9A1130
	s_mov_b32 m0, s54                                          // 000000003D70: BEFC0036
	s_mov_b32 s59, 0                                           // 000000003D74: BEBB0080
	v_mov_b32_e32 v28, s59                                     // 000000003D78: 7E38023B
	v_add_co_u32_e32 v218, vcc, s20, v32                       // 000000003D7C: 33B44014
	v_addc_co_u32_e32 v219, vcc, v215, v192, vcc               // 000000003D80: 39B781D7
	v_add_co_u32_e32 v218, vcc, v218, v28                      // 000000003D84: 33B439DA
	v_addc_co_u32_e64 v219, vcc, v219, 0, vcc                  // 000000003D88: D11C6ADB 01A901DB
	s_add_i32 m0, m0, s59                                      // 000000003D90: 817C3B7C
	global_load_lds_dwordx4 v[218:219], off                    // 000000003D94: DDF48000 007F00DA
	s_add_i32 m0, m0, 0x3c0                                    // 000000003D9C: 817CFF7C 000003C0
	s_waitcnt lgkmcnt(0)                                       // 000000003DA4: BF8CC07F
	v_mfma_f32_16x16x128_f8f6f4 v[38:41], a[56:63], a[16:23], v[38:41]// 000000003DA8: D3AD0026 1C9A2138
	ds_read_b128 a[84:87], v20 offset:10240                    // 000000003DB0: DBFE2800 54000014
	v_mfma_f32_16x16x128_f8f6f4 v[38:41], a[64:71], a[24:31], v[38:41]// 000000003DB8: D3AD0026 1C9A3140
	s_mov_b32 s59, 64                                          // 000000003DC0: BEBB00C0
	v_mov_b32_e32 v28, s59                                     // 000000003DC4: 7E38023B
	v_add_co_u32_e32 v218, vcc, s20, v32                       // 000000003DC8: 33B44014
	v_addc_co_u32_e32 v219, vcc, v215, v192, vcc               // 000000003DCC: 39B781D7
	v_add_co_u32_e32 v218, vcc, v218, v28                      // 000000003DD0: 33B439DA
	v_addc_co_u32_e64 v219, vcc, v219, 0, vcc                  // 000000003DD4: D11C6ADB 01A901DB
	s_add_i32 m0, m0, s59                                      // 000000003DDC: 817C3B7C
	global_load_lds_dwordx4 v[218:219], off                    // 000000003DE0: DDF48000 007F00DA
	s_add_i32 m0, m0, 0x380                                    // 000000003DE8: 817CFF7C 00000380
	s_waitcnt lgkmcnt(0)                                       // 000000003DF0: BF8CC07F
	v_mfma_f32_16x16x128_f8f6f4 v[38:41], a[72:79], a[32:39], v[38:41]// 000000003DF4: D3AD0026 1C9A4148
	ds_read_b128 a[88:91], v20 offset:11264                    // 000000003DFC: DBFE2C00 58000014
	s_mov_b32 s59, 0x80                                        // 000000003E04: BEBB00FF 00000080
	v_mov_b32_e32 v28, s59                                     // 000000003E0C: 7E38023B
	v_add_co_u32_e32 v218, vcc, s20, v32                       // 000000003E10: 33B44014
	v_addc_co_u32_e32 v219, vcc, v215, v192, vcc               // 000000003E14: 39B781D7
	v_add_co_u32_e32 v218, vcc, v218, v28                      // 000000003E18: 33B439DA
	v_addc_co_u32_e64 v219, vcc, v219, 0, vcc                  // 000000003E1C: D11C6ADB 01A901DB
	s_add_i32 m0, m0, s59                                      // 000000003E24: 817C3B7C
	global_load_lds_dwordx4 v[218:219], off                    // 000000003E28: DDF48000 007F00DA
	s_add_i32 m0, m0, 0x340                                    // 000000003E30: 817CFF7C 00000340
	s_mov_b32 s59, 0xc0                                        // 000000003E38: BEBB00FF 000000C0
	v_mov_b32_e32 v28, s59                                     // 000000003E40: 7E38023B
	v_add_co_u32_e32 v218, vcc, s20, v32                       // 000000003E44: 33B44014
	v_addc_co_u32_e32 v219, vcc, v215, v192, vcc               // 000000003E48: 39B781D7
	v_add_co_u32_e32 v218, vcc, v218, v28                      // 000000003E4C: 33B439DA
	v_addc_co_u32_e64 v219, vcc, v219, 0, vcc                  // 000000003E50: D11C6ADB 01A901DB
	s_add_i32 m0, m0, s59                                      // 000000003E58: 817C3B7C
	global_load_lds_dwordx4 v[218:219], off                    // 000000003E5C: DDF48000 007F00DA
	s_add_i32 m0, m0, 0x300                                    // 000000003E64: 817CFF7C 00000300
	s_mov_b32 s59, 0x100                                       // 000000003E6C: BEBB00FF 00000100
	v_mov_b32_e32 v28, s59                                     // 000000003E74: 7E38023B
	v_add_co_u32_e32 v218, vcc, s20, v32                       // 000000003E78: 33B44014
	v_addc_co_u32_e32 v219, vcc, v215, v192, vcc               // 000000003E7C: 39B781D7
	v_add_co_u32_e32 v218, vcc, v218, v28                      // 000000003E80: 33B439DA
	v_addc_co_u32_e64 v219, vcc, v219, 0, vcc                  // 000000003E84: D11C6ADB 01A901DB
	s_add_i32 m0, m0, s59                                      // 000000003E8C: 817C3B7C
	global_load_lds_dwordx4 v[218:219], off                    // 000000003E90: DDF48000 007F00DA
	s_add_i32 m0, m0, 0x2c0                                    // 000000003E98: 817CFF7C 000002C0
	s_mov_b32 s59, 0x140                                       // 000000003EA0: BEBB00FF 00000140
	v_mov_b32_e32 v28, s59                                     // 000000003EA8: 7E38023B
	v_add_co_u32_e32 v218, vcc, s20, v32                       // 000000003EAC: 33B44014
	v_addc_co_u32_e32 v219, vcc, v215, v192, vcc               // 000000003EB0: 39B781D7
	v_add_co_u32_e32 v218, vcc, v218, v28                      // 000000003EB4: 33B439DA
	v_addc_co_u32_e64 v219, vcc, v219, 0, vcc                  // 000000003EB8: D11C6ADB 01A901DB
	s_add_i32 m0, m0, s59                                      // 000000003EC0: 817C3B7C
	global_load_lds_dwordx4 v[218:219], off                    // 000000003EC4: DDF48000 007F00DA
	s_add_i32 m0, m0, 0x280                                    // 000000003ECC: 817CFF7C 00000280
	s_mov_b32 s59, 0x180                                       // 000000003ED4: BEBB00FF 00000180
	v_mov_b32_e32 v28, s59                                     // 000000003EDC: 7E38023B
	v_add_co_u32_e32 v218, vcc, s20, v32                       // 000000003EE0: 33B44014
	v_addc_co_u32_e32 v219, vcc, v215, v192, vcc               // 000000003EE4: 39B781D7
	v_add_co_u32_e32 v218, vcc, v218, v28                      // 000000003EE8: 33B439DA
	v_addc_co_u32_e64 v219, vcc, v219, 0, vcc                  // 000000003EEC: D11C6ADB 01A901DB
	s_add_i32 m0, m0, s59                                      // 000000003EF4: 817C3B7C
	global_load_lds_dwordx4 v[218:219], off                    // 000000003EF8: DDF48000 007F00DA
	s_add_i32 m0, m0, 0x240                                    // 000000003F00: 817CFF7C 00000240
	s_mov_b32 s59, 0x1c0                                       // 000000003F08: BEBB00FF 000001C0
	v_mov_b32_e32 v28, s59                                     // 000000003F10: 7E38023B
	v_add_co_u32_e32 v218, vcc, s20, v32                       // 000000003F14: 33B44014
	v_addc_co_u32_e32 v219, vcc, v215, v192, vcc               // 000000003F18: 39B781D7
	v_add_co_u32_e32 v218, vcc, v218, v28                      // 000000003F1C: 33B439DA
	v_addc_co_u32_e64 v219, vcc, v219, 0, vcc                  // 000000003F20: D11C6ADB 01A901DB
	s_add_i32 m0, m0, s59                                      // 000000003F28: 817C3B7C
	global_load_lds_dwordx4 v[218:219], off                    // 000000003F2C: DDF48000 007F00DA
	s_add_i32 m0, m0, 0x200                                    // 000000003F34: 817CFF7C 00000200
	s_mov_b32 s59, 0x200                                       // 000000003F3C: BEBB00FF 00000200
	v_mov_b32_e32 v28, s59                                     // 000000003F44: 7E38023B
	v_add_co_u32_e32 v218, vcc, s20, v32                       // 000000003F48: 33B44014
	v_addc_co_u32_e32 v219, vcc, v215, v192, vcc               // 000000003F4C: 39B781D7
	v_add_co_u32_e32 v218, vcc, v218, v28                      // 000000003F50: 33B439DA
	v_addc_co_u32_e64 v219, vcc, v219, 0, vcc                  // 000000003F54: D11C6ADB 01A901DB
	s_add_i32 m0, m0, s59                                      // 000000003F5C: 817C3B7C
	global_load_lds_dwordx4 v[218:219], off                    // 000000003F60: DDF48000 007F00DA
	s_add_i32 m0, m0, 0x1c0                                    // 000000003F68: 817CFF7C 000001C0
	s_waitcnt lgkmcnt(0)                                       // 000000003F70: BF8CC07F
	ds_read_b128 a[92:95], v20 offset:12288                    // 000000003F74: DBFE3000 5C000014
	ds_read_b128 a[96:99], v20 offset:13312                    // 000000003F7C: DBFE3400 60000014
	ds_read_b128 a[100:103], v20 offset:14336                  // 000000003F84: DBFE3800 64000014
	ds_read_b128 a[104:107], v20 offset:15360                  // 000000003F8C: DBFE3C00 68000014
	ds_read_b128 a[108:111], v20 offset:16384                  // 000000003F94: DBFE4000 6C000014
	ds_read_b128 a[112:115], v20 offset:17408                  // 000000003F9C: DBFE4400 70000014
	v_add_u32_e32 v26, s73, v26                                // 000000003FA4: 68343449
	v_add_u32_e32 v27, s73, v27                                // 000000003FA8: 68363649
	s_waitcnt lgkmcnt(0)                                       // 000000003FAC: BF8CC07F
	v_mfma_f32_16x16x128_f8f6f4 v[42:45], a[80:87], a[0:7], 0  // 000000003FB0: D3AD002A 1A020150
	s_mov_b32 m0, s55                                          // 000000003FB8: BEFC0037
	s_mov_b32 s59, 0                                           // 000000003FBC: BEBB0080
	v_mov_b32_e32 v28, s59                                     // 000000003FC0: 7E38023B
	v_add_co_u32_e32 v218, vcc, s20, v33                       // 000000003FC4: 33B44214
	v_addc_co_u32_e32 v219, vcc, v215, v193, vcc               // 000000003FC8: 39B783D7
	v_add_co_u32_e32 v218, vcc, v218, v28                      // 000000003FCC: 33B439DA
	v_addc_co_u32_e64 v219, vcc, v219, 0, vcc                  // 000000003FD0: D11C6ADB 01A901DB
	s_add_i32 m0, m0, s59                                      // 000000003FD8: 817C3B7C
	global_load_lds_dwordx4 v[218:219], off                    // 000000003FDC: DDF48000 007F00DA
	s_add_i32 m0, m0, 0x3c0                                    // 000000003FE4: 817CFF7C 000003C0
	s_waitcnt lgkmcnt(0)                                       // 000000003FEC: BF8CC07F
	v_mfma_f32_16x16x128_f8f6f4 v[42:45], a[88:95], a[8:15], v[42:45]// 000000003FF0: D3AD002A 1CAA1158
	v_mfma_f32_16x16x128_f8f6f4 v[42:45], a[96:103], a[16:23], v[42:45]// 000000003FF8: D3AD002A 1CAA2160
	s_mov_b32 m0, s55                                          // 000000004000: BEFC0037
	s_mov_b32 s59, 0                                           // 000000004004: BEBB0080
	v_mov_b32_e32 v28, s59                                     // 000000004008: 7E38023B
	v_add_co_u32_e32 v218, vcc, s20, v33                       // 00000000400C: 33B44214
	v_addc_co_u32_e32 v219, vcc, v215, v193, vcc               // 000000004010: 39B783D7
	v_add_co_u32_e32 v218, vcc, v218, v28                      // 000000004014: 33B439DA
	v_addc_co_u32_e64 v219, vcc, v219, 0, vcc                  // 000000004018: D11C6ADB 01A901DB
	s_add_i32 m0, m0, s59                                      // 000000004020: 817C3B7C
	global_load_lds_dwordx4 v[218:219], off                    // 000000004024: DDF48000 007F00DA
	s_add_i32 m0, m0, 0x3c0                                    // 00000000402C: 817CFF7C 000003C0
	s_waitcnt lgkmcnt(0)                                       // 000000004034: BF8CC07F
	v_mfma_f32_16x16x128_f8f6f4 v[42:45], a[104:111], a[24:31], v[42:45]// 000000004038: D3AD002A 1CAA3168
	v_mfma_f32_16x16x128_f8f6f4 v[42:45], a[112:119], a[32:39], v[42:45]// 000000004040: D3AD002A 1CAA4170
	s_mov_b32 m0, s55                                          // 000000004048: BEFC0037
	s_mov_b32 s59, 0                                           // 00000000404C: BEBB0080
	v_mov_b32_e32 v28, s59                                     // 000000004050: 7E38023B
	v_add_co_u32_e32 v218, vcc, s20, v33                       // 000000004054: 33B44214
	v_addc_co_u32_e32 v219, vcc, v215, v193, vcc               // 000000004058: 39B783D7
	v_add_co_u32_e32 v218, vcc, v218, v28                      // 00000000405C: 33B439DA
	v_addc_co_u32_e64 v219, vcc, v219, 0, vcc                  // 000000004060: D11C6ADB 01A901DB
	s_add_i32 m0, m0, s59                                      // 000000004068: 817C3B7C
	global_load_lds_dwordx4 v[218:219], off                    // 00000000406C: DDF48000 007F00DA
	s_add_i32 m0, m0, 0x3c0                                    // 000000004074: 817CFF7C 000003C0
	s_waitcnt lgkmcnt(0)                                       // 00000000407C: BF8CC07F
	s_mov_b32 m0, s55                                          // 000000004080: BEFC0037
	s_mov_b32 s59, 0                                           // 000000004084: BEBB0080
	v_mov_b32_e32 v28, s59                                     // 000000004088: 7E38023B
	v_add_co_u32_e32 v218, vcc, s20, v33                       // 00000000408C: 33B44214
	v_addc_co_u32_e32 v219, vcc, v215, v193, vcc               // 000000004090: 39B783D7
	v_add_co_u32_e32 v218, vcc, v218, v28                      // 000000004094: 33B439DA
	v_addc_co_u32_e64 v219, vcc, v219, 0, vcc                  // 000000004098: D11C6ADB 01A901DB
	s_add_i32 m0, m0, s59                                      // 0000000040A0: 817C3B7C
	global_load_lds_dwordx4 v[218:219], off                    // 0000000040A4: DDF48000 007F00DA
	s_add_i32 m0, m0, 0x3c0                                    // 0000000040AC: 817CFF7C 000003C0
	s_mov_b32 s59, 64                                          // 0000000040B4: BEBB00C0
	v_mov_b32_e32 v28, s59                                     // 0000000040B8: 7E38023B
	v_add_co_u32_e32 v218, vcc, s20, v33                       // 0000000040BC: 33B44214
	v_addc_co_u32_e32 v219, vcc, v215, v193, vcc               // 0000000040C0: 39B783D7
	v_add_co_u32_e32 v218, vcc, v218, v28                      // 0000000040C4: 33B439DA
	v_addc_co_u32_e64 v219, vcc, v219, 0, vcc                  // 0000000040C8: D11C6ADB 01A901DB
	s_add_i32 m0, m0, s59                                      // 0000000040D0: 817C3B7C
	global_load_lds_dwordx4 v[218:219], off                    // 0000000040D4: DDF48000 007F00DA
	s_add_i32 m0, m0, 0x380                                    // 0000000040DC: 817CFF7C 00000380
	s_mov_b32 s59, 0x80                                        // 0000000040E4: BEBB00FF 00000080
	v_mov_b32_e32 v28, s59                                     // 0000000040EC: 7E38023B
	v_add_co_u32_e32 v218, vcc, s20, v33                       // 0000000040F0: 33B44214
	v_addc_co_u32_e32 v219, vcc, v215, v193, vcc               // 0000000040F4: 39B783D7
	v_add_co_u32_e32 v218, vcc, v218, v28                      // 0000000040F8: 33B439DA
	v_addc_co_u32_e64 v219, vcc, v219, 0, vcc                  // 0000000040FC: D11C6ADB 01A901DB
	s_add_i32 m0, m0, s59                                      // 000000004104: 817C3B7C
	global_load_lds_dwordx4 v[218:219], off                    // 000000004108: DDF48000 007F00DA
	s_add_i32 m0, m0, 0x340                                    // 000000004110: 817CFF7C 00000340
	s_mov_b32 s59, 0xc0                                        // 000000004118: BEBB00FF 000000C0
	v_mov_b32_e32 v28, s59                                     // 000000004120: 7E38023B
	v_add_co_u32_e32 v218, vcc, s20, v33                       // 000000004124: 33B44214
	v_addc_co_u32_e32 v219, vcc, v215, v193, vcc               // 000000004128: 39B783D7
	v_add_co_u32_e32 v218, vcc, v218, v28                      // 00000000412C: 33B439DA
	v_addc_co_u32_e64 v219, vcc, v219, 0, vcc                  // 000000004130: D11C6ADB 01A901DB
	s_add_i32 m0, m0, s59                                      // 000000004138: 817C3B7C
	global_load_lds_dwordx4 v[218:219], off                    // 00000000413C: DDF48000 007F00DA
	s_add_i32 m0, m0, 0x300                                    // 000000004144: 817CFF7C 00000300
	s_mov_b32 s59, 0x100                                       // 00000000414C: BEBB00FF 00000100
	v_mov_b32_e32 v28, s59                                     // 000000004154: 7E38023B
	v_add_co_u32_e32 v218, vcc, s20, v33                       // 000000004158: 33B44214
	v_addc_co_u32_e32 v219, vcc, v215, v193, vcc               // 00000000415C: 39B783D7
	v_add_co_u32_e32 v218, vcc, v218, v28                      // 000000004160: 33B439DA
	v_addc_co_u32_e64 v219, vcc, v219, 0, vcc                  // 000000004164: D11C6ADB 01A901DB
	s_add_i32 m0, m0, s59                                      // 00000000416C: 817C3B7C
	global_load_lds_dwordx4 v[218:219], off                    // 000000004170: DDF48000 007F00DA
	s_add_i32 m0, m0, 0x2c0                                    // 000000004178: 817CFF7C 000002C0
	s_mov_b32 s59, 0x140                                       // 000000004180: BEBB00FF 00000140
	v_mov_b32_e32 v28, s59                                     // 000000004188: 7E38023B
	v_add_co_u32_e32 v218, vcc, s20, v33                       // 00000000418C: 33B44214
	v_addc_co_u32_e32 v219, vcc, v215, v193, vcc               // 000000004190: 39B783D7
	v_add_co_u32_e32 v218, vcc, v218, v28                      // 000000004194: 33B439DA
	v_addc_co_u32_e64 v219, vcc, v219, 0, vcc                  // 000000004198: D11C6ADB 01A901DB
	s_add_i32 m0, m0, s59                                      // 0000000041A0: 817C3B7C
	global_load_lds_dwordx4 v[218:219], off                    // 0000000041A4: DDF48000 007F00DA
	s_add_i32 m0, m0, 0x280                                    // 0000000041AC: 817CFF7C 00000280
	s_mov_b32 s59, 0x180                                       // 0000000041B4: BEBB00FF 00000180
	v_mov_b32_e32 v28, s59                                     // 0000000041BC: 7E38023B
	v_add_co_u32_e32 v218, vcc, s20, v33                       // 0000000041C0: 33B44214
	v_addc_co_u32_e32 v219, vcc, v215, v193, vcc               // 0000000041C4: 39B783D7
	v_add_co_u32_e32 v218, vcc, v218, v28                      // 0000000041C8: 33B439DA
	v_addc_co_u32_e64 v219, vcc, v219, 0, vcc                  // 0000000041CC: D11C6ADB 01A901DB
	s_add_i32 m0, m0, s59                                      // 0000000041D4: 817C3B7C
	global_load_lds_dwordx4 v[218:219], off                    // 0000000041D8: DDF48000 007F00DA
	s_add_i32 m0, m0, 0x240                                    // 0000000041E0: 817CFF7C 00000240
	s_mov_b32 s59, 0x1c0                                       // 0000000041E8: BEBB00FF 000001C0
	v_mov_b32_e32 v28, s59                                     // 0000000041F0: 7E38023B
	v_add_co_u32_e32 v218, vcc, s20, v33                       // 0000000041F4: 33B44214
	v_addc_co_u32_e32 v219, vcc, v215, v193, vcc               // 0000000041F8: 39B783D7
	v_add_co_u32_e32 v218, vcc, v218, v28                      // 0000000041FC: 33B439DA
	v_addc_co_u32_e64 v219, vcc, v219, 0, vcc                  // 000000004200: D11C6ADB 01A901DB
	s_add_i32 m0, m0, s59                                      // 000000004208: 817C3B7C
	global_load_lds_dwordx4 v[218:219], off                    // 00000000420C: DDF48000 007F00DA
	s_add_i32 m0, m0, 0x200                                    // 000000004214: 817CFF7C 00000200
	s_mov_b32 s59, 0x200                                       // 00000000421C: BEBB00FF 00000200
	v_mov_b32_e32 v28, s59                                     // 000000004224: 7E38023B
	v_add_co_u32_e32 v218, vcc, s20, v33                       // 000000004228: 33B44214
	v_addc_co_u32_e32 v219, vcc, v215, v193, vcc               // 00000000422C: 39B783D7
	v_add_co_u32_e32 v218, vcc, v218, v28                      // 000000004230: 33B439DA
	v_addc_co_u32_e64 v219, vcc, v219, 0, vcc                  // 000000004234: D11C6ADB 01A901DB
	s_add_i32 m0, m0, s59                                      // 00000000423C: 817C3B7C
	global_load_lds_dwordx4 v[218:219], off                    // 000000004240: DDF48000 007F00DA
	s_add_i32 m0, m0, 0x1c0                                    // 000000004248: 817CFF7C 000001C0
	s_waitcnt lgkmcnt(0)                                       // 000000004250: BF8CC07F
	s_nop 2                                                    // 000000004254: BF800002
	v_mov_b32_e32 v29, v38                                     // 000000004258: 7E3A0326
	v_max3_f32 v29, v38, v39, v29                              // 00000000425C: D1D3001D 04764F26
	v_max3_f32 v29, v40, v41, v29                              // 000000004264: D1D3001D 04765328
	v_max3_f32 v29, v42, v43, v29                              // 00000000426C: D1D3001D 0476572A
	v_max3_f32 v29, v44, v45, v29                              // 000000004274: D1D3001D 04765B2C
	v_mov_b32_e32 v28, v29                                     // 00000000427C: 7E38031D
	v_mov_b32_e32 v29, v29                                     // 000000004280: 7E3A031D
	s_nop 1                                                    // 000000004284: BF800001
	v_permlane16_swap_b32_e32 v28, v29                         // 000000004288: 7E38B31D
	v_mov_b32_e32 v31, v28                                     // 00000000428C: 7E3E031C
	v_mov_b32_e32 v30, v29                                     // 000000004290: 7E3C031D
	s_nop 1                                                    // 000000004294: BF800001
	v_permlane32_swap_b32_e32 v28, v29                         // 000000004298: 7E38B51D
	v_permlane32_swap_b32_e32 v30, v31                         // 00000000429C: 7E3CB51F
	v_max3_f32 v29, v28, v29, v29                              // 0000000042A0: D1D3001D 04763B1C
	v_max3_f32 v29, v30, v31, v29                              // 0000000042A8: D1D3001D 04763F1E
	ds_write_b32 v36, v29                                      // 0000000042B0: D81A0000 00001D24
	s_waitcnt lgkmcnt(0)                                       // 0000000042B8: BF8CC07F
	s_barrier                                                  // 0000000042BC: BF8A0000
	ds_read_b32 v46, v37                                       // 0000000042C0: D86C0000 2E000025
	ds_read_b32 v47, v37 offset:256                            // 0000000042C8: D86C0100 2F000025
	ds_read_b32 v48, v37 offset:512                            // 0000000042D0: D86C0200 30000025
	ds_read_b32 v49, v37 offset:768                            // 0000000042D8: D86C0300 31000025
	s_waitcnt lgkmcnt(0)                                       // 0000000042E0: BF8CC07F
	v_max3_f32 v29, v46, v47, v29                              // 0000000042E4: D1D3001D 04765F2E
	v_max3_f32 v29, v48, v49, v29                              // 0000000042EC: D1D3001D 04766330
	v_mov_b32_e32 v28, 0xff800000                              // 0000000042F4: 7E3802FF FF800000
	v_cmp_eq_u32_e64 s[36:37], v28, v2                         // 0000000042FC: D0CA0024 0002051C
	v_max_f32_e32 v29, v29, v2                                 // 000000004304: 163A051D
	v_sub_f32_e32 v18, v2, v29                                 // 000000004308: 04243B02
	v_cndmask_b32_e64 v18, v18, 0, s[36:37]                    // 00000000430C: D1000012 00910112
	v_mov_b32_e32 v2, v29                                      // 000000004314: 7E04031D
	v_mul_f32_e32 v29, s96, v29                                // 000000004318: 0A3A3A60
	v_mul_f32_e32 v18, s96, v18                                // 00000000431C: 0A242460
	v_exp_f32_e32 v18, v18                                     // 000000004320: 7E244112
	v_add_f32_e64 v30, 0, -v29                                 // 000000004324: D101001E 40023A80
	v_mov_b32_e32 v31, v30                                     // 00000000432C: 7E3E031E
	v_pk_fma_f32 v[38:39], v[38:39], s[96:97], v[30:31]        // 000000004330: D3B04026 1C78C126
	v_pk_fma_f32 v[40:41], v[40:41], s[96:97], v[30:31]        // 000000004338: D3B04028 1C78C128
	v_pk_fma_f32 v[42:43], v[42:43], s[96:97], v[30:31]        // 000000004340: D3B0402A 1C78C12A
	v_pk_fma_f32 v[44:45], v[44:45], s[96:97], v[30:31]        // 000000004348: D3B0402C 1C78C12C
	v_exp_f32_e32 v38, v38                                     // 000000004350: 7E4C4126
	v_exp_f32_e32 v39, v39                                     // 000000004354: 7E4E4127
	v_exp_f32_e32 v40, v40                                     // 000000004358: 7E504128
	v_exp_f32_e32 v41, v41                                     // 00000000435C: 7E524129
	v_exp_f32_e32 v42, v42                                     // 000000004360: 7E54412A
	v_exp_f32_e32 v43, v43                                     // 000000004364: 7E56412B
	v_exp_f32_e32 v44, v44                                     // 000000004368: 7E58412C
	v_exp_f32_e32 v45, v45                                     // 00000000436C: 7E5A412D
	v_mul_f32_e32 v4, v18, v4                                  // 000000004370: 0A080912
	v_mov_b32_e32 v28, v38                                     // 000000004374: 7E380326
	v_add_f32_e32 v28, v39, v28                                // 000000004378: 02383927
	v_add_f32_e32 v28, v40, v28                                // 00000000437C: 02383928
	v_add_f32_e32 v28, v41, v28                                // 000000004380: 02383929
	v_add_f32_e32 v28, v42, v28                                // 000000004384: 0238392A
	v_add_f32_e32 v28, v43, v28                                // 000000004388: 0238392B
	v_add_f32_e32 v28, v44, v28                                // 00000000438C: 0238392C
	v_add_f32_e32 v28, v45, v28                                // 000000004390: 0238392D
	v_add_f32_e32 v4, v28, v4                                  // 000000004394: 0208091C
	v_cvt_pk_fp8_f32 v38, v38, v39                             // 000000004398: D2A20026 00024F26
	v_cvt_pk_fp8_f32 v38, v40, v41 op_sel:[0,0,1]              // 0000000043A0: D2A24026 00025328
	v_cvt_pk_fp8_f32 v39, v42, v43                             // 0000000043A8: D2A20027 0002572A
	v_cvt_pk_fp8_f32 v39, v44, v45 op_sel:[0,0,1]              // 0000000043B0: D2A24027 00025B2C
	s_nop 0                                                    // 0000000043B8: BF800000
	v_permlane16_swap_b32_e32 v38, v39                         // 0000000043BC: 7E4CB327
	ds_write_b64 v34, v[38:39]                                 // 0000000043C0: D89A0000 00002622
	s_waitcnt lgkmcnt(0)                                       // 0000000043C8: BF8CC07F
	s_barrier                                                  // 0000000043CC: BF8A0000
	ds_read_b64 v[38:39], v35                                  // 0000000043D0: D8EC0000 26000023
	ds_read_b64 v[40:41], v35 offset:256                       // 0000000043D8: D8EC0100 28000023
	ds_read_b64 v[42:43], v35 offset:1024                      // 0000000043E0: D8EC0400 2A000023
	ds_read_b64 v[44:45], v35 offset:1280                      // 0000000043E8: D8EC0500 2C000023
	v_mul_f32_e32 v70, v18, v70                                // 0000000043F0: 0A8C8D12
	v_mul_f32_e32 v71, v18, v71                                // 0000000043F4: 0A8E8F12
	v_mul_f32_e32 v72, v18, v72                                // 0000000043F8: 0A909112
	v_mul_f32_e32 v73, v18, v73                                // 0000000043FC: 0A929312
	v_mul_f32_e32 v74, v18, v74                                // 000000004400: 0A949512
	v_mul_f32_e32 v75, v18, v75                                // 000000004404: 0A969712
	v_mul_f32_e32 v76, v18, v76                                // 000000004408: 0A989912
	v_mul_f32_e32 v77, v18, v77                                // 00000000440C: 0A9A9B12
	v_mul_f32_e32 v78, v18, v78                                // 000000004410: 0A9C9D12
	v_mul_f32_e32 v79, v18, v79                                // 000000004414: 0A9E9F12
	v_mul_f32_e32 v80, v18, v80                                // 000000004418: 0AA0A112
	v_mul_f32_e32 v81, v18, v81                                // 00000000441C: 0AA2A312
	v_mul_f32_e32 v82, v18, v82                                // 000000004420: 0AA4A512
	v_mul_f32_e32 v83, v18, v83                                // 000000004424: 0AA6A712
	v_mul_f32_e32 v84, v18, v84                                // 000000004428: 0AA8A912
	v_mul_f32_e32 v85, v18, v85                                // 00000000442C: 0AAAAB12
	v_mul_f32_e32 v86, v18, v86                                // 000000004430: 0AACAD12
	v_mul_f32_e32 v87, v18, v87                                // 000000004434: 0AAEAF12
	v_mul_f32_e32 v88, v18, v88                                // 000000004438: 0AB0B112
	v_mul_f32_e32 v89, v18, v89                                // 00000000443C: 0AB2B312
	v_mul_f32_e32 v90, v18, v90                                // 000000004440: 0AB4B512
	v_mul_f32_e32 v91, v18, v91                                // 000000004444: 0AB6B712
	v_mul_f32_e32 v92, v18, v92                                // 000000004448: 0AB8B912
	v_mul_f32_e32 v93, v18, v93                                // 00000000444C: 0ABABB12
	v_mul_f32_e32 v94, v18, v94                                // 000000004450: 0ABCBD12
	v_mul_f32_e32 v95, v18, v95                                // 000000004454: 0ABEBF12
	v_mul_f32_e32 v96, v18, v96                                // 000000004458: 0AC0C112
	v_mul_f32_e32 v97, v18, v97                                // 00000000445C: 0AC2C312
	v_mul_f32_e32 v98, v18, v98                                // 000000004460: 0AC4C512
	v_mul_f32_e32 v99, v18, v99                                // 000000004464: 0AC6C712
	v_mul_f32_e32 v100, v18, v100                              // 000000004468: 0AC8C912
	v_mul_f32_e32 v101, v18, v101                              // 00000000446C: 0ACACB12
	s_waitcnt lgkmcnt(0)                                       // 000000004470: BF8CC07F
	v_mfma_f32_16x16x128_f8f6f4 v[70:73], a[120:127], v[38:45], v[70:73]// 000000004474: D3AD0046 0D1A4D78
	v_mfma_f32_16x16x128_f8f6f4 v[74:77], a[128:135], v[38:45], v[74:77]// 00000000447C: D3AD004A 0D2A4D80
	v_mfma_f32_16x16x128_f8f6f4 v[78:81], a[136:143], v[38:45], v[78:81]// 000000004484: D3AD004E 0D3A4D88
	v_mfma_f32_16x16x128_f8f6f4 v[82:85], a[144:151], v[38:45], v[82:85]// 00000000448C: D3AD0052 0D4A4D90
	v_mfma_f32_16x16x128_f8f6f4 v[86:89], a[152:159], v[38:45], v[86:89]// 000000004494: D3AD0056 0D5A4D98
	v_mfma_f32_16x16x128_f8f6f4 v[90:93], a[160:167], v[38:45], v[90:93]// 00000000449C: D3AD005A 0D6A4DA0
	v_mfma_f32_16x16x128_f8f6f4 v[94:97], a[168:175], v[38:45], v[94:97]// 0000000044A4: D3AD005E 0D7A4DA8
	v_mfma_f32_16x16x128_f8f6f4 v[98:101], a[176:183], v[38:45], v[98:101]// 0000000044AC: D3AD0062 0D8A4DB0
	s_waitcnt lgkmcnt(0)                                       // 0000000044B4: BF8CC07F
	s_waitcnt vmcnt(2)                                         // 0000000044B8: BF8C0F72
	s_barrier                                                  // 0000000044BC: BF8A0000
	ds_read_b64_tr_b8 a[120:121], v10                          // 0000000044C0: DBC40000 7800000A
	ds_read_b64_tr_b8 a[122:123], v11                          // 0000000044C8: DBC40000 7A00000B
	ds_read_b64_tr_b8 a[124:125], v10 offset:36864             // 0000000044D0: DBC49000 7C00000A
	ds_read_b64_tr_b8 a[126:127], v11 offset:36864             // 0000000044D8: DBC49000 7E00000B
	ds_read_b64_tr_b8 a[128:129], v10 offset:16                // 0000000044E0: DBC40010 8000000A
	ds_read_b64_tr_b8 a[130:131], v11 offset:16                // 0000000044E8: DBC40010 8200000B
	ds_read_b64_tr_b8 a[132:133], v10 offset:36880             // 0000000044F0: DBC49010 8400000A
	ds_read_b64_tr_b8 a[134:135], v11 offset:36880             // 0000000044F8: DBC49010 8600000B
	ds_read_b64_tr_b8 a[136:137], v12                          // 000000004500: DBC40000 8800000C
	ds_read_b64_tr_b8 a[138:139], v13                          // 000000004508: DBC40000 8A00000D
	ds_read_b64_tr_b8 a[140:141], v12 offset:36864             // 000000004510: DBC49000 8C00000C
	ds_read_b64_tr_b8 a[142:143], v13 offset:36864             // 000000004518: DBC49000 8E00000D
	ds_read_b64_tr_b8 a[144:145], v12 offset:16                // 000000004520: DBC40010 9000000C
	ds_read_b64_tr_b8 a[146:147], v13 offset:16                // 000000004528: DBC40010 9200000D
	ds_read_b64_tr_b8 a[148:149], v12 offset:36880             // 000000004530: DBC49010 9400000C
	ds_read_b64_tr_b8 a[150:151], v13 offset:36880             // 000000004538: DBC49010 9600000D
	ds_read_b64_tr_b8 a[152:153], v10 offset:1024              // 000000004540: DBC40400 9800000A
	ds_read_b64_tr_b8 a[154:155], v11 offset:1024              // 000000004548: DBC40400 9A00000B
	ds_read_b64_tr_b8 a[156:157], v10 offset:37888             // 000000004550: DBC49400 9C00000A
	ds_read_b64_tr_b8 a[158:159], v11 offset:37888             // 000000004558: DBC49400 9E00000B
	ds_read_b64_tr_b8 a[160:161], v10 offset:1040              // 000000004560: DBC40410 A000000A
	ds_read_b64_tr_b8 a[162:163], v11 offset:1040              // 000000004568: DBC40410 A200000B
	ds_read_b64_tr_b8 a[164:165], v10 offset:37904             // 000000004570: DBC49410 A400000A
	ds_read_b64_tr_b8 a[166:167], v11 offset:37904             // 000000004578: DBC49410 A600000B
	ds_read_b64_tr_b8 a[168:169], v12 offset:1024              // 000000004580: DBC40400 A800000C
	ds_read_b64_tr_b8 a[170:171], v13 offset:1024              // 000000004588: DBC40400 AA00000D
	ds_read_b64_tr_b8 a[172:173], v12 offset:37888             // 000000004590: DBC49400 AC00000C
	ds_read_b64_tr_b8 a[174:175], v13 offset:37888             // 000000004598: DBC49400 AE00000D
	ds_read_b64_tr_b8 a[176:177], v12 offset:1040              // 0000000045A0: DBC40410 B000000C
	ds_read_b64_tr_b8 a[178:179], v13 offset:1040              // 0000000045A8: DBC40410 B200000D
	ds_read_b64_tr_b8 a[180:181], v12 offset:37904             // 0000000045B0: DBC49410 B400000C
	ds_read_b64_tr_b8 a[182:183], v13 offset:37904             // 0000000045B8: DBC49410 B600000D
	s_waitcnt lgkmcnt(0)                                       // 0000000045C0: BF8CC07F
	ds_read_b128 a[40:43], v21                                 // 0000000045C4: DBFE0000 28000015
	ds_read_b128 a[44:47], v21 offset:1024                     // 0000000045CC: DBFE0400 2C000015
	ds_read_b128 a[48:51], v21 offset:2048                     // 0000000045D4: DBFE0800 30000015
	ds_read_b128 a[52:55], v21 offset:3072                     // 0000000045DC: DBFE0C00 34000015
	ds_read_b128 a[56:59], v21 offset:4096                     // 0000000045E4: DBFE1000 38000015
	ds_read_b128 a[60:63], v21 offset:5120                     // 0000000045EC: DBFE1400 3C000015
	ds_read_b128 a[64:67], v21 offset:6144                     // 0000000045F4: DBFE1800 40000015
	ds_read_b128 a[68:71], v21 offset:7168                     // 0000000045FC: DBFE1C00 44000015
	ds_read_b128 a[72:75], v21 offset:8192                     // 000000004604: DBFE2000 48000015
	s_addk_i32 s70, 0x1                                        // 00000000460C: B7460001
	s_cmp_lt_i32 s70, s71                                      // 000000004610: BF044746
	s_cbranch_scc0 label_231C                                  // 000000004614: BF840001
	s_branch label_1100                                        // 000000004618: BF82FB79

000000000000461c <label_231C>:
	s_nop 0                                                    // 00000000461C: BF800000
	s_nop 0                                                    // 000000004620: BF800000
	s_branch label_3544                                        // 000000004624: BF820487

0000000000004628 <label_2328>:
	s_waitcnt lgkmcnt(4)                                       // 000000004628: BF8CC47F
	v_mfma_f32_16x16x128_f8f6f4 v[38:41], a[40:47], a[0:7], 0  // 00000000462C: D3AD0026 1A020128
	v_mul_u32_u24_e64 v32, v22, s68                            // 000000004634: D1080020 00008916
	v_mul_u32_u24_e64 v33, v23, s68                            // 00000000463C: D1080021 00008917
	v_mul_hi_u32 v192, v22, s68                                // 000000004644: D28600C0 00008916
	v_mul_hi_u32 v193, v23, s68                                // 00000000464C: D28600C1 00008917
	v_add_co_u32_e32 v32, vcc, v32, v1                         // 000000004654: 32400320
	v_addc_co_u32_e64 v192, vcc, v192, 0, vcc                  // 000000004658: D11C6AC0 01A901C0
	v_add_co_u32_e32 v33, vcc, v33, v1                         // 000000004660: 32420321
	v_addc_co_u32_e64 v193, vcc, v193, 0, vcc                  // 000000004664: D11C6AC1 01A901C1
	buffer_load_dword v22, v26, s[24:27], 0 offen              // 00000000466C: E0501000 8006161A
	buffer_load_dword v23, v27, s[24:27], 0 offen              // 000000004674: E0501000 8006171B
	ds_read_b128 a[80:83], v21 offset:9216                     // 00000000467C: DBFE2400 50000015
	v_mfma_f32_16x16x128_f8f6f4 v[38:41], a[48:55], a[8:15], v[38:41]// 000000004684: D3AD0026 1C9A1130
	s_mov_b32 m0, s56                                          // 00000000468C: BEFC0038
	s_mov_b32 s59, 0                                           // 000000004690: BEBB0080
	v_mov_b32_e32 v28, s59                                     // 000000004694: 7E38023B
	v_add_co_u32_e32 v218, vcc, s20, v32                       // 000000004698: 33B44014
	v_addc_co_u32_e32 v219, vcc, v215, v192, vcc               // 00000000469C: 39B781D7
	v_add_co_u32_e32 v218, vcc, v218, v28                      // 0000000046A0: 33B439DA
	v_addc_co_u32_e64 v219, vcc, v219, 0, vcc                  // 0000000046A4: D11C6ADB 01A901DB
	s_add_i32 m0, m0, s59                                      // 0000000046AC: 817C3B7C
	global_load_lds_dwordx4 v[218:219], off                    // 0000000046B0: DDF48000 007F00DA
	s_add_i32 m0, m0, 0x3c0                                    // 0000000046B8: 817CFF7C 000003C0
	s_waitcnt lgkmcnt(0)                                       // 0000000046C0: BF8CC07F
	v_mfma_f32_16x16x128_f8f6f4 v[38:41], a[56:63], a[16:23], v[38:41]// 0000000046C4: D3AD0026 1C9A2138
	ds_read_b128 a[84:87], v21 offset:10240                    // 0000000046CC: DBFE2800 54000015
	v_mfma_f32_16x16x128_f8f6f4 v[38:41], a[64:71], a[24:31], v[38:41]// 0000000046D4: D3AD0026 1C9A3140
	s_mov_b32 s59, 64                                          // 0000000046DC: BEBB00C0
	v_mov_b32_e32 v28, s59                                     // 0000000046E0: 7E38023B
	v_add_co_u32_e32 v218, vcc, s20, v32                       // 0000000046E4: 33B44014
	v_addc_co_u32_e32 v219, vcc, v215, v192, vcc               // 0000000046E8: 39B781D7
	v_add_co_u32_e32 v218, vcc, v218, v28                      // 0000000046EC: 33B439DA
	v_addc_co_u32_e64 v219, vcc, v219, 0, vcc                  // 0000000046F0: D11C6ADB 01A901DB
	s_add_i32 m0, m0, s59                                      // 0000000046F8: 817C3B7C
	global_load_lds_dwordx4 v[218:219], off                    // 0000000046FC: DDF48000 007F00DA
	s_add_i32 m0, m0, 0x380                                    // 000000004704: 817CFF7C 00000380
	s_waitcnt lgkmcnt(0)                                       // 00000000470C: BF8CC07F
	v_mfma_f32_16x16x128_f8f6f4 v[38:41], a[72:79], a[32:39], v[38:41]// 000000004710: D3AD0026 1C9A4148
	ds_read_b128 a[88:91], v21 offset:11264                    // 000000004718: DBFE2C00 58000015
	s_mov_b32 s59, 0x80                                        // 000000004720: BEBB00FF 00000080
	v_mov_b32_e32 v28, s59                                     // 000000004728: 7E38023B
	v_add_co_u32_e32 v218, vcc, s20, v32                       // 00000000472C: 33B44014
	v_addc_co_u32_e32 v219, vcc, v215, v192, vcc               // 000000004730: 39B781D7
	v_add_co_u32_e32 v218, vcc, v218, v28                      // 000000004734: 33B439DA
	v_addc_co_u32_e64 v219, vcc, v219, 0, vcc                  // 000000004738: D11C6ADB 01A901DB
	s_add_i32 m0, m0, s59                                      // 000000004740: 817C3B7C
	global_load_lds_dwordx4 v[218:219], off                    // 000000004744: DDF48000 007F00DA
	s_add_i32 m0, m0, 0x340                                    // 00000000474C: 817CFF7C 00000340
	s_mov_b32 s59, 0xc0                                        // 000000004754: BEBB00FF 000000C0
	v_mov_b32_e32 v28, s59                                     // 00000000475C: 7E38023B
	v_add_co_u32_e32 v218, vcc, s20, v32                       // 000000004760: 33B44014
	v_addc_co_u32_e32 v219, vcc, v215, v192, vcc               // 000000004764: 39B781D7
	v_add_co_u32_e32 v218, vcc, v218, v28                      // 000000004768: 33B439DA
	v_addc_co_u32_e64 v219, vcc, v219, 0, vcc                  // 00000000476C: D11C6ADB 01A901DB
	s_add_i32 m0, m0, s59                                      // 000000004774: 817C3B7C
	global_load_lds_dwordx4 v[218:219], off                    // 000000004778: DDF48000 007F00DA
	s_add_i32 m0, m0, 0x300                                    // 000000004780: 817CFF7C 00000300
	s_mov_b32 s59, 0x100                                       // 000000004788: BEBB00FF 00000100
	v_mov_b32_e32 v28, s59                                     // 000000004790: 7E38023B
	v_add_co_u32_e32 v218, vcc, s20, v32                       // 000000004794: 33B44014
	v_addc_co_u32_e32 v219, vcc, v215, v192, vcc               // 000000004798: 39B781D7
	v_add_co_u32_e32 v218, vcc, v218, v28                      // 00000000479C: 33B439DA
	v_addc_co_u32_e64 v219, vcc, v219, 0, vcc                  // 0000000047A0: D11C6ADB 01A901DB
	s_add_i32 m0, m0, s59                                      // 0000000047A8: 817C3B7C
	global_load_lds_dwordx4 v[218:219], off                    // 0000000047AC: DDF48000 007F00DA
	s_add_i32 m0, m0, 0x2c0                                    // 0000000047B4: 817CFF7C 000002C0
	s_mov_b32 s59, 0x140                                       // 0000000047BC: BEBB00FF 00000140
	v_mov_b32_e32 v28, s59                                     // 0000000047C4: 7E38023B
	v_add_co_u32_e32 v218, vcc, s20, v32                       // 0000000047C8: 33B44014
	v_addc_co_u32_e32 v219, vcc, v215, v192, vcc               // 0000000047CC: 39B781D7
	v_add_co_u32_e32 v218, vcc, v218, v28                      // 0000000047D0: 33B439DA
	v_addc_co_u32_e64 v219, vcc, v219, 0, vcc                  // 0000000047D4: D11C6ADB 01A901DB
	s_add_i32 m0, m0, s59                                      // 0000000047DC: 817C3B7C
	global_load_lds_dwordx4 v[218:219], off                    // 0000000047E0: DDF48000 007F00DA
	s_add_i32 m0, m0, 0x280                                    // 0000000047E8: 817CFF7C 00000280
	s_mov_b32 s59, 0x180                                       // 0000000047F0: BEBB00FF 00000180
	v_mov_b32_e32 v28, s59                                     // 0000000047F8: 7E38023B
	v_add_co_u32_e32 v218, vcc, s20, v32                       // 0000000047FC: 33B44014
	v_addc_co_u32_e32 v219, vcc, v215, v192, vcc               // 000000004800: 39B781D7
	v_add_co_u32_e32 v218, vcc, v218, v28                      // 000000004804: 33B439DA
	v_addc_co_u32_e64 v219, vcc, v219, 0, vcc                  // 000000004808: D11C6ADB 01A901DB
	s_add_i32 m0, m0, s59                                      // 000000004810: 817C3B7C
	global_load_lds_dwordx4 v[218:219], off                    // 000000004814: DDF48000 007F00DA
	s_add_i32 m0, m0, 0x240                                    // 00000000481C: 817CFF7C 00000240
	s_mov_b32 s59, 0x1c0                                       // 000000004824: BEBB00FF 000001C0
	v_mov_b32_e32 v28, s59                                     // 00000000482C: 7E38023B
	v_add_co_u32_e32 v218, vcc, s20, v32                       // 000000004830: 33B44014
	v_addc_co_u32_e32 v219, vcc, v215, v192, vcc               // 000000004834: 39B781D7
	v_add_co_u32_e32 v218, vcc, v218, v28                      // 000000004838: 33B439DA
	v_addc_co_u32_e64 v219, vcc, v219, 0, vcc                  // 00000000483C: D11C6ADB 01A901DB
	s_add_i32 m0, m0, s59                                      // 000000004844: 817C3B7C
	global_load_lds_dwordx4 v[218:219], off                    // 000000004848: DDF48000 007F00DA
	s_add_i32 m0, m0, 0x200                                    // 000000004850: 817CFF7C 00000200
	s_mov_b32 s59, 0x200                                       // 000000004858: BEBB00FF 00000200
	v_mov_b32_e32 v28, s59                                     // 000000004860: 7E38023B
	v_add_co_u32_e32 v218, vcc, s20, v32                       // 000000004864: 33B44014
	v_addc_co_u32_e32 v219, vcc, v215, v192, vcc               // 000000004868: 39B781D7
	v_add_co_u32_e32 v218, vcc, v218, v28                      // 00000000486C: 33B439DA
	v_addc_co_u32_e64 v219, vcc, v219, 0, vcc                  // 000000004870: D11C6ADB 01A901DB
	s_add_i32 m0, m0, s59                                      // 000000004878: 817C3B7C
	global_load_lds_dwordx4 v[218:219], off                    // 00000000487C: DDF48000 007F00DA
	s_add_i32 m0, m0, 0x1c0                                    // 000000004884: 817CFF7C 000001C0
	s_waitcnt lgkmcnt(0)                                       // 00000000488C: BF8CC07F
	ds_read_b128 a[92:95], v21 offset:12288                    // 000000004890: DBFE3000 5C000015
	ds_read_b128 a[96:99], v21 offset:13312                    // 000000004898: DBFE3400 60000015
	ds_read_b128 a[100:103], v21 offset:14336                  // 0000000048A0: DBFE3800 64000015
	ds_read_b128 a[104:107], v21 offset:15360                  // 0000000048A8: DBFE3C00 68000015
	ds_read_b128 a[108:111], v21 offset:16384                  // 0000000048B0: DBFE4000 6C000015
	ds_read_b128 a[112:115], v21 offset:17408                  // 0000000048B8: DBFE4400 70000015
	v_add_u32_e32 v26, s73, v26                                // 0000000048C0: 68343449
	v_add_u32_e32 v27, s73, v27                                // 0000000048C4: 68363649
	s_waitcnt lgkmcnt(0)                                       // 0000000048C8: BF8CC07F
	v_mfma_f32_16x16x128_f8f6f4 v[42:45], a[80:87], a[0:7], 0  // 0000000048CC: D3AD002A 1A020150
	s_mov_b32 m0, s57                                          // 0000000048D4: BEFC0039
	s_mov_b32 s59, 0                                           // 0000000048D8: BEBB0080
	v_mov_b32_e32 v28, s59                                     // 0000000048DC: 7E38023B
	v_add_co_u32_e32 v218, vcc, s20, v33                       // 0000000048E0: 33B44214
	v_addc_co_u32_e32 v219, vcc, v215, v193, vcc               // 0000000048E4: 39B783D7
	v_add_co_u32_e32 v218, vcc, v218, v28                      // 0000000048E8: 33B439DA
	v_addc_co_u32_e64 v219, vcc, v219, 0, vcc                  // 0000000048EC: D11C6ADB 01A901DB
	s_add_i32 m0, m0, s59                                      // 0000000048F4: 817C3B7C
	global_load_lds_dwordx4 v[218:219], off                    // 0000000048F8: DDF48000 007F00DA
	s_add_i32 m0, m0, 0x3c0                                    // 000000004900: 817CFF7C 000003C0
	s_waitcnt lgkmcnt(0)                                       // 000000004908: BF8CC07F
	v_mfma_f32_16x16x128_f8f6f4 v[42:45], a[88:95], a[8:15], v[42:45]// 00000000490C: D3AD002A 1CAA1158
	v_mfma_f32_16x16x128_f8f6f4 v[42:45], a[96:103], a[16:23], v[42:45]// 000000004914: D3AD002A 1CAA2160
	s_mov_b32 m0, s57                                          // 00000000491C: BEFC0039
	s_mov_b32 s59, 0                                           // 000000004920: BEBB0080
	v_mov_b32_e32 v28, s59                                     // 000000004924: 7E38023B
	v_add_co_u32_e32 v218, vcc, s20, v33                       // 000000004928: 33B44214
	v_addc_co_u32_e32 v219, vcc, v215, v193, vcc               // 00000000492C: 39B783D7
	v_add_co_u32_e32 v218, vcc, v218, v28                      // 000000004930: 33B439DA
	v_addc_co_u32_e64 v219, vcc, v219, 0, vcc                  // 000000004934: D11C6ADB 01A901DB
	s_add_i32 m0, m0, s59                                      // 00000000493C: 817C3B7C
	global_load_lds_dwordx4 v[218:219], off                    // 000000004940: DDF48000 007F00DA
	s_add_i32 m0, m0, 0x3c0                                    // 000000004948: 817CFF7C 000003C0
	s_waitcnt lgkmcnt(0)                                       // 000000004950: BF8CC07F
	v_mfma_f32_16x16x128_f8f6f4 v[42:45], a[104:111], a[24:31], v[42:45]// 000000004954: D3AD002A 1CAA3168
	v_mfma_f32_16x16x128_f8f6f4 v[42:45], a[112:119], a[32:39], v[42:45]// 00000000495C: D3AD002A 1CAA4170
	s_mov_b32 m0, s57                                          // 000000004964: BEFC0039
	s_mov_b32 s59, 0                                           // 000000004968: BEBB0080
	v_mov_b32_e32 v28, s59                                     // 00000000496C: 7E38023B
	v_add_co_u32_e32 v218, vcc, s20, v33                       // 000000004970: 33B44214
	v_addc_co_u32_e32 v219, vcc, v215, v193, vcc               // 000000004974: 39B783D7
	v_add_co_u32_e32 v218, vcc, v218, v28                      // 000000004978: 33B439DA
	v_addc_co_u32_e64 v219, vcc, v219, 0, vcc                  // 00000000497C: D11C6ADB 01A901DB
	s_add_i32 m0, m0, s59                                      // 000000004984: 817C3B7C
	global_load_lds_dwordx4 v[218:219], off                    // 000000004988: DDF48000 007F00DA
	s_add_i32 m0, m0, 0x3c0                                    // 000000004990: 817CFF7C 000003C0
	s_waitcnt lgkmcnt(0)                                       // 000000004998: BF8CC07F
	s_mov_b32 m0, s57                                          // 00000000499C: BEFC0039
	s_mov_b32 s59, 0                                           // 0000000049A0: BEBB0080
	v_mov_b32_e32 v28, s59                                     // 0000000049A4: 7E38023B
	v_add_co_u32_e32 v218, vcc, s20, v33                       // 0000000049A8: 33B44214
	v_addc_co_u32_e32 v219, vcc, v215, v193, vcc               // 0000000049AC: 39B783D7
	v_add_co_u32_e32 v218, vcc, v218, v28                      // 0000000049B0: 33B439DA
	v_addc_co_u32_e64 v219, vcc, v219, 0, vcc                  // 0000000049B4: D11C6ADB 01A901DB
	s_add_i32 m0, m0, s59                                      // 0000000049BC: 817C3B7C
	global_load_lds_dwordx4 v[218:219], off                    // 0000000049C0: DDF48000 007F00DA
	s_add_i32 m0, m0, 0x3c0                                    // 0000000049C8: 817CFF7C 000003C0
	s_mov_b32 s59, 64                                          // 0000000049D0: BEBB00C0
	v_mov_b32_e32 v28, s59                                     // 0000000049D4: 7E38023B
	v_add_co_u32_e32 v218, vcc, s20, v33                       // 0000000049D8: 33B44214
	v_addc_co_u32_e32 v219, vcc, v215, v193, vcc               // 0000000049DC: 39B783D7
	v_add_co_u32_e32 v218, vcc, v218, v28                      // 0000000049E0: 33B439DA
	v_addc_co_u32_e64 v219, vcc, v219, 0, vcc                  // 0000000049E4: D11C6ADB 01A901DB
	s_add_i32 m0, m0, s59                                      // 0000000049EC: 817C3B7C
	global_load_lds_dwordx4 v[218:219], off                    // 0000000049F0: DDF48000 007F00DA
	s_add_i32 m0, m0, 0x380                                    // 0000000049F8: 817CFF7C 00000380
	s_mov_b32 s59, 0x80                                        // 000000004A00: BEBB00FF 00000080
	v_mov_b32_e32 v28, s59                                     // 000000004A08: 7E38023B
	v_add_co_u32_e32 v218, vcc, s20, v33                       // 000000004A0C: 33B44214
	v_addc_co_u32_e32 v219, vcc, v215, v193, vcc               // 000000004A10: 39B783D7
	v_add_co_u32_e32 v218, vcc, v218, v28                      // 000000004A14: 33B439DA
	v_addc_co_u32_e64 v219, vcc, v219, 0, vcc                  // 000000004A18: D11C6ADB 01A901DB
	s_add_i32 m0, m0, s59                                      // 000000004A20: 817C3B7C
	global_load_lds_dwordx4 v[218:219], off                    // 000000004A24: DDF48000 007F00DA
	s_add_i32 m0, m0, 0x340                                    // 000000004A2C: 817CFF7C 00000340
	s_mov_b32 s59, 0xc0                                        // 000000004A34: BEBB00FF 000000C0
	v_mov_b32_e32 v28, s59                                     // 000000004A3C: 7E38023B
	v_add_co_u32_e32 v218, vcc, s20, v33                       // 000000004A40: 33B44214
	v_addc_co_u32_e32 v219, vcc, v215, v193, vcc               // 000000004A44: 39B783D7
	v_add_co_u32_e32 v218, vcc, v218, v28                      // 000000004A48: 33B439DA
	v_addc_co_u32_e64 v219, vcc, v219, 0, vcc                  // 000000004A4C: D11C6ADB 01A901DB
	s_add_i32 m0, m0, s59                                      // 000000004A54: 817C3B7C
	global_load_lds_dwordx4 v[218:219], off                    // 000000004A58: DDF48000 007F00DA
	s_add_i32 m0, m0, 0x300                                    // 000000004A60: 817CFF7C 00000300
	s_mov_b32 s59, 0x100                                       // 000000004A68: BEBB00FF 00000100
	v_mov_b32_e32 v28, s59                                     // 000000004A70: 7E38023B
	v_add_co_u32_e32 v218, vcc, s20, v33                       // 000000004A74: 33B44214
	v_addc_co_u32_e32 v219, vcc, v215, v193, vcc               // 000000004A78: 39B783D7
	v_add_co_u32_e32 v218, vcc, v218, v28                      // 000000004A7C: 33B439DA
	v_addc_co_u32_e64 v219, vcc, v219, 0, vcc                  // 000000004A80: D11C6ADB 01A901DB
	s_add_i32 m0, m0, s59                                      // 000000004A88: 817C3B7C
	global_load_lds_dwordx4 v[218:219], off                    // 000000004A8C: DDF48000 007F00DA
	s_add_i32 m0, m0, 0x2c0                                    // 000000004A94: 817CFF7C 000002C0
	s_mov_b32 s59, 0x140                                       // 000000004A9C: BEBB00FF 00000140
	v_mov_b32_e32 v28, s59                                     // 000000004AA4: 7E38023B
	v_add_co_u32_e32 v218, vcc, s20, v33                       // 000000004AA8: 33B44214
	v_addc_co_u32_e32 v219, vcc, v215, v193, vcc               // 000000004AAC: 39B783D7
	v_add_co_u32_e32 v218, vcc, v218, v28                      // 000000004AB0: 33B439DA
	v_addc_co_u32_e64 v219, vcc, v219, 0, vcc                  // 000000004AB4: D11C6ADB 01A901DB
	s_add_i32 m0, m0, s59                                      // 000000004ABC: 817C3B7C
	global_load_lds_dwordx4 v[218:219], off                    // 000000004AC0: DDF48000 007F00DA
	s_add_i32 m0, m0, 0x280                                    // 000000004AC8: 817CFF7C 00000280
	s_mov_b32 s59, 0x180                                       // 000000004AD0: BEBB00FF 00000180
	v_mov_b32_e32 v28, s59                                     // 000000004AD8: 7E38023B
	v_add_co_u32_e32 v218, vcc, s20, v33                       // 000000004ADC: 33B44214
	v_addc_co_u32_e32 v219, vcc, v215, v193, vcc               // 000000004AE0: 39B783D7
	v_add_co_u32_e32 v218, vcc, v218, v28                      // 000000004AE4: 33B439DA
	v_addc_co_u32_e64 v219, vcc, v219, 0, vcc                  // 000000004AE8: D11C6ADB 01A901DB
	s_add_i32 m0, m0, s59                                      // 000000004AF0: 817C3B7C
	global_load_lds_dwordx4 v[218:219], off                    // 000000004AF4: DDF48000 007F00DA
	s_add_i32 m0, m0, 0x240                                    // 000000004AFC: 817CFF7C 00000240
	s_mov_b32 s59, 0x1c0                                       // 000000004B04: BEBB00FF 000001C0
	v_mov_b32_e32 v28, s59                                     // 000000004B0C: 7E38023B
	v_add_co_u32_e32 v218, vcc, s20, v33                       // 000000004B10: 33B44214
	v_addc_co_u32_e32 v219, vcc, v215, v193, vcc               // 000000004B14: 39B783D7
	v_add_co_u32_e32 v218, vcc, v218, v28                      // 000000004B18: 33B439DA
	v_addc_co_u32_e64 v219, vcc, v219, 0, vcc                  // 000000004B1C: D11C6ADB 01A901DB
	s_add_i32 m0, m0, s59                                      // 000000004B24: 817C3B7C
	global_load_lds_dwordx4 v[218:219], off                    // 000000004B28: DDF48000 007F00DA
	s_add_i32 m0, m0, 0x200                                    // 000000004B30: 817CFF7C 00000200
	s_mov_b32 s59, 0x200                                       // 000000004B38: BEBB00FF 00000200
	v_mov_b32_e32 v28, s59                                     // 000000004B40: 7E38023B
	v_add_co_u32_e32 v218, vcc, s20, v33                       // 000000004B44: 33B44214
	v_addc_co_u32_e32 v219, vcc, v215, v193, vcc               // 000000004B48: 39B783D7
	v_add_co_u32_e32 v218, vcc, v218, v28                      // 000000004B4C: 33B439DA
	v_addc_co_u32_e64 v219, vcc, v219, 0, vcc                  // 000000004B50: D11C6ADB 01A901DB
	s_add_i32 m0, m0, s59                                      // 000000004B58: 817C3B7C
	global_load_lds_dwordx4 v[218:219], off                    // 000000004B5C: DDF48000 007F00DA
	s_add_i32 m0, m0, 0x1c0                                    // 000000004B64: 817CFF7C 000001C0
	s_waitcnt lgkmcnt(0)                                       // 000000004B6C: BF8CC07F
	s_nop 2                                                    // 000000004B70: BF800002
	v_mov_b32_e32 v29, v38                                     // 000000004B74: 7E3A0326
	v_max3_f32 v29, v38, v39, v29                              // 000000004B78: D1D3001D 04764F26
	v_max3_f32 v29, v40, v41, v29                              // 000000004B80: D1D3001D 04765328
	v_max3_f32 v29, v42, v43, v29                              // 000000004B88: D1D3001D 0476572A
	v_max3_f32 v29, v44, v45, v29                              // 000000004B90: D1D3001D 04765B2C
	v_mov_b32_e32 v28, v29                                     // 000000004B98: 7E38031D
	v_mov_b32_e32 v29, v29                                     // 000000004B9C: 7E3A031D
	s_nop 1                                                    // 000000004BA0: BF800001
	v_permlane16_swap_b32_e32 v28, v29                         // 000000004BA4: 7E38B31D
	v_mov_b32_e32 v31, v28                                     // 000000004BA8: 7E3E031C
	v_mov_b32_e32 v30, v29                                     // 000000004BAC: 7E3C031D
	s_nop 1                                                    // 000000004BB0: BF800001
	v_permlane32_swap_b32_e32 v28, v29                         // 000000004BB4: 7E38B51D
	v_permlane32_swap_b32_e32 v30, v31                         // 000000004BB8: 7E3CB51F
	v_max3_f32 v29, v28, v29, v29                              // 000000004BBC: D1D3001D 04763B1C
	v_max3_f32 v29, v30, v31, v29                              // 000000004BC4: D1D3001D 04763F1E
	ds_write_b32 v36, v29                                      // 000000004BCC: D81A0000 00001D24
	s_waitcnt lgkmcnt(0)                                       // 000000004BD4: BF8CC07F
	s_barrier                                                  // 000000004BD8: BF8A0000
	ds_read_b32 v46, v37                                       // 000000004BDC: D86C0000 2E000025
	ds_read_b32 v47, v37 offset:256                            // 000000004BE4: D86C0100 2F000025
	ds_read_b32 v48, v37 offset:512                            // 000000004BEC: D86C0200 30000025
	ds_read_b32 v49, v37 offset:768                            // 000000004BF4: D86C0300 31000025
	s_waitcnt lgkmcnt(0)                                       // 000000004BFC: BF8CC07F
	v_max3_f32 v29, v46, v47, v29                              // 000000004C00: D1D3001D 04765F2E
	v_max3_f32 v29, v48, v49, v29                              // 000000004C08: D1D3001D 04766330
	v_mov_b32_e32 v28, 0xff800000                              // 000000004C10: 7E3802FF FF800000
	v_cmp_eq_u32_e64 s[36:37], v28, v2                         // 000000004C18: D0CA0024 0002051C
	v_max_f32_e32 v29, v29, v2                                 // 000000004C20: 163A051D
	v_sub_f32_e32 v18, v2, v29                                 // 000000004C24: 04243B02
	v_cndmask_b32_e64 v18, v18, 0, s[36:37]                    // 000000004C28: D1000012 00910112
	v_mov_b32_e32 v2, v29                                      // 000000004C30: 7E04031D
	v_mul_f32_e32 v29, s96, v29                                // 000000004C34: 0A3A3A60
	v_mul_f32_e32 v18, s96, v18                                // 000000004C38: 0A242460
	v_exp_f32_e32 v18, v18                                     // 000000004C3C: 7E244112
	v_add_f32_e64 v30, 0, -v29                                 // 000000004C40: D101001E 40023A80
	v_mov_b32_e32 v31, v30                                     // 000000004C48: 7E3E031E
	v_pk_fma_f32 v[38:39], v[38:39], s[96:97], v[30:31]        // 000000004C4C: D3B04026 1C78C126
	v_pk_fma_f32 v[40:41], v[40:41], s[96:97], v[30:31]        // 000000004C54: D3B04028 1C78C128
	v_pk_fma_f32 v[42:43], v[42:43], s[96:97], v[30:31]        // 000000004C5C: D3B0402A 1C78C12A
	v_pk_fma_f32 v[44:45], v[44:45], s[96:97], v[30:31]        // 000000004C64: D3B0402C 1C78C12C
	v_exp_f32_e32 v38, v38                                     // 000000004C6C: 7E4C4126
	v_exp_f32_e32 v39, v39                                     // 000000004C70: 7E4E4127
	v_exp_f32_e32 v40, v40                                     // 000000004C74: 7E504128
	v_exp_f32_e32 v41, v41                                     // 000000004C78: 7E524129
	v_exp_f32_e32 v42, v42                                     // 000000004C7C: 7E54412A
	v_exp_f32_e32 v43, v43                                     // 000000004C80: 7E56412B
	v_exp_f32_e32 v44, v44                                     // 000000004C84: 7E58412C
	v_exp_f32_e32 v45, v45                                     // 000000004C88: 7E5A412D
	v_mul_f32_e32 v4, v18, v4                                  // 000000004C8C: 0A080912
	v_mov_b32_e32 v28, v38                                     // 000000004C90: 7E380326
	v_add_f32_e32 v28, v39, v28                                // 000000004C94: 02383927
	v_add_f32_e32 v28, v40, v28                                // 000000004C98: 02383928
	v_add_f32_e32 v28, v41, v28                                // 000000004C9C: 02383929
	v_add_f32_e32 v28, v42, v28                                // 000000004CA0: 0238392A
	v_add_f32_e32 v28, v43, v28                                // 000000004CA4: 0238392B
	v_add_f32_e32 v28, v44, v28                                // 000000004CA8: 0238392C
	v_add_f32_e32 v28, v45, v28                                // 000000004CAC: 0238392D
	v_add_f32_e32 v4, v28, v4                                  // 000000004CB0: 0208091C
	v_cvt_pk_fp8_f32 v38, v38, v39                             // 000000004CB4: D2A20026 00024F26
	v_cvt_pk_fp8_f32 v38, v40, v41 op_sel:[0,0,1]              // 000000004CBC: D2A24026 00025328
	v_cvt_pk_fp8_f32 v39, v42, v43                             // 000000004CC4: D2A20027 0002572A
	v_cvt_pk_fp8_f32 v39, v44, v45 op_sel:[0,0,1]              // 000000004CCC: D2A24027 00025B2C
	s_nop 0                                                    // 000000004CD4: BF800000
	v_permlane16_swap_b32_e32 v38, v39                         // 000000004CD8: 7E4CB327
	ds_write_b64 v34, v[38:39]                                 // 000000004CDC: D89A0000 00002622
	s_waitcnt lgkmcnt(0)                                       // 000000004CE4: BF8CC07F
	s_barrier                                                  // 000000004CE8: BF8A0000
	ds_read_b64 v[38:39], v35                                  // 000000004CEC: D8EC0000 26000023
	ds_read_b64 v[40:41], v35 offset:256                       // 000000004CF4: D8EC0100 28000023
	ds_read_b64 v[42:43], v35 offset:1024                      // 000000004CFC: D8EC0400 2A000023
	ds_read_b64 v[44:45], v35 offset:1280                      // 000000004D04: D8EC0500 2C000023
	v_mul_f32_e32 v70, v18, v70                                // 000000004D0C: 0A8C8D12
	v_mul_f32_e32 v71, v18, v71                                // 000000004D10: 0A8E8F12
	v_mul_f32_e32 v72, v18, v72                                // 000000004D14: 0A909112
	v_mul_f32_e32 v73, v18, v73                                // 000000004D18: 0A929312
	v_mul_f32_e32 v74, v18, v74                                // 000000004D1C: 0A949512
	v_mul_f32_e32 v75, v18, v75                                // 000000004D20: 0A969712
	v_mul_f32_e32 v76, v18, v76                                // 000000004D24: 0A989912
	v_mul_f32_e32 v77, v18, v77                                // 000000004D28: 0A9A9B12
	v_mul_f32_e32 v78, v18, v78                                // 000000004D2C: 0A9C9D12
	v_mul_f32_e32 v79, v18, v79                                // 000000004D30: 0A9E9F12
	v_mul_f32_e32 v80, v18, v80                                // 000000004D34: 0AA0A112
	v_mul_f32_e32 v81, v18, v81                                // 000000004D38: 0AA2A312
	v_mul_f32_e32 v82, v18, v82                                // 000000004D3C: 0AA4A512
	v_mul_f32_e32 v83, v18, v83                                // 000000004D40: 0AA6A712
	v_mul_f32_e32 v84, v18, v84                                // 000000004D44: 0AA8A912
	v_mul_f32_e32 v85, v18, v85                                // 000000004D48: 0AAAAB12
	v_mul_f32_e32 v86, v18, v86                                // 000000004D4C: 0AACAD12
	v_mul_f32_e32 v87, v18, v87                                // 000000004D50: 0AAEAF12
	v_mul_f32_e32 v88, v18, v88                                // 000000004D54: 0AB0B112
	v_mul_f32_e32 v89, v18, v89                                // 000000004D58: 0AB2B312
	v_mul_f32_e32 v90, v18, v90                                // 000000004D5C: 0AB4B512
	v_mul_f32_e32 v91, v18, v91                                // 000000004D60: 0AB6B712
	v_mul_f32_e32 v92, v18, v92                                // 000000004D64: 0AB8B912
	v_mul_f32_e32 v93, v18, v93                                // 000000004D68: 0ABABB12
	v_mul_f32_e32 v94, v18, v94                                // 000000004D6C: 0ABCBD12
	v_mul_f32_e32 v95, v18, v95                                // 000000004D70: 0ABEBF12
	v_mul_f32_e32 v96, v18, v96                                // 000000004D74: 0AC0C112
	v_mul_f32_e32 v97, v18, v97                                // 000000004D78: 0AC2C312
	v_mul_f32_e32 v98, v18, v98                                // 000000004D7C: 0AC4C512
	v_mul_f32_e32 v99, v18, v99                                // 000000004D80: 0AC6C712
	v_mul_f32_e32 v100, v18, v100                              // 000000004D84: 0AC8C912
	v_mul_f32_e32 v101, v18, v101                              // 000000004D88: 0ACACB12
	s_waitcnt lgkmcnt(0)                                       // 000000004D8C: BF8CC07F
	v_mfma_f32_16x16x128_f8f6f4 v[70:73], a[120:127], v[38:45], v[70:73]// 000000004D90: D3AD0046 0D1A4D78
	v_mfma_f32_16x16x128_f8f6f4 v[74:77], a[128:135], v[38:45], v[74:77]// 000000004D98: D3AD004A 0D2A4D80
	v_mfma_f32_16x16x128_f8f6f4 v[78:81], a[136:143], v[38:45], v[78:81]// 000000004DA0: D3AD004E 0D3A4D88
	v_mfma_f32_16x16x128_f8f6f4 v[82:85], a[144:151], v[38:45], v[82:85]// 000000004DA8: D3AD0052 0D4A4D90
	v_mfma_f32_16x16x128_f8f6f4 v[86:89], a[152:159], v[38:45], v[86:89]// 000000004DB0: D3AD0056 0D5A4D98
	v_mfma_f32_16x16x128_f8f6f4 v[90:93], a[160:167], v[38:45], v[90:93]// 000000004DB8: D3AD005A 0D6A4DA0
	v_mfma_f32_16x16x128_f8f6f4 v[94:97], a[168:175], v[38:45], v[94:97]// 000000004DC0: D3AD005E 0D7A4DA8
	v_mfma_f32_16x16x128_f8f6f4 v[98:101], a[176:183], v[38:45], v[98:101]// 000000004DC8: D3AD0062 0D8A4DB0
	s_waitcnt lgkmcnt(0)                                       // 000000004DD0: BF8CC07F
	s_waitcnt vmcnt(2)                                         // 000000004DD4: BF8C0F72
	s_barrier                                                  // 000000004DD8: BF8A0000
	ds_read_b64_tr_b8 a[120:121], v6                           // 000000004DDC: DBC40000 78000006
	ds_read_b64_tr_b8 a[122:123], v7                           // 000000004DE4: DBC40000 7A000007
	ds_read_b64_tr_b8 a[124:125], v6 offset:36864              // 000000004DEC: DBC49000 7C000006
	ds_read_b64_tr_b8 a[126:127], v7 offset:36864              // 000000004DF4: DBC49000 7E000007
	ds_read_b64_tr_b8 a[128:129], v6 offset:16                 // 000000004DFC: DBC40010 80000006
	ds_read_b64_tr_b8 a[130:131], v7 offset:16                 // 000000004E04: DBC40010 82000007
	ds_read_b64_tr_b8 a[132:133], v6 offset:36880              // 000000004E0C: DBC49010 84000006
	ds_read_b64_tr_b8 a[134:135], v7 offset:36880              // 000000004E14: DBC49010 86000007
	ds_read_b64_tr_b8 a[136:137], v8                           // 000000004E1C: DBC40000 88000008
	ds_read_b64_tr_b8 a[138:139], v9                           // 000000004E24: DBC40000 8A000009
	ds_read_b64_tr_b8 a[140:141], v8 offset:36864              // 000000004E2C: DBC49000 8C000008
	ds_read_b64_tr_b8 a[142:143], v9 offset:36864              // 000000004E34: DBC49000 8E000009
	ds_read_b64_tr_b8 a[144:145], v8 offset:16                 // 000000004E3C: DBC40010 90000008
	ds_read_b64_tr_b8 a[146:147], v9 offset:16                 // 000000004E44: DBC40010 92000009
	ds_read_b64_tr_b8 a[148:149], v8 offset:36880              // 000000004E4C: DBC49010 94000008
	ds_read_b64_tr_b8 a[150:151], v9 offset:36880              // 000000004E54: DBC49010 96000009
	ds_read_b64_tr_b8 a[152:153], v6 offset:1024               // 000000004E5C: DBC40400 98000006
	ds_read_b64_tr_b8 a[154:155], v7 offset:1024               // 000000004E64: DBC40400 9A000007
	ds_read_b64_tr_b8 a[156:157], v6 offset:37888              // 000000004E6C: DBC49400 9C000006
	ds_read_b64_tr_b8 a[158:159], v7 offset:37888              // 000000004E74: DBC49400 9E000007
	ds_read_b64_tr_b8 a[160:161], v6 offset:1040               // 000000004E7C: DBC40410 A0000006
	ds_read_b64_tr_b8 a[162:163], v7 offset:1040               // 000000004E84: DBC40410 A2000007
	ds_read_b64_tr_b8 a[164:165], v6 offset:37904              // 000000004E8C: DBC49410 A4000006
	ds_read_b64_tr_b8 a[166:167], v7 offset:37904              // 000000004E94: DBC49410 A6000007
	ds_read_b64_tr_b8 a[168:169], v8 offset:1024               // 000000004E9C: DBC40400 A8000008
	ds_read_b64_tr_b8 a[170:171], v9 offset:1024               // 000000004EA4: DBC40400 AA000009
	ds_read_b64_tr_b8 a[172:173], v8 offset:37888              // 000000004EAC: DBC49400 AC000008
	ds_read_b64_tr_b8 a[174:175], v9 offset:37888              // 000000004EB4: DBC49400 AE000009
	ds_read_b64_tr_b8 a[176:177], v8 offset:1040               // 000000004EBC: DBC40410 B0000008
	ds_read_b64_tr_b8 a[178:179], v9 offset:1040               // 000000004EC4: DBC40410 B2000009
	ds_read_b64_tr_b8 a[180:181], v8 offset:37904              // 000000004ECC: DBC49410 B4000008
	ds_read_b64_tr_b8 a[182:183], v9 offset:37904              // 000000004ED4: DBC49410 B6000009
	s_waitcnt lgkmcnt(0)                                       // 000000004EDC: BF8CC07F
	ds_read_b128 a[40:43], v20                                 // 000000004EE0: DBFE0000 28000014
	ds_read_b128 a[44:47], v20 offset:1024                     // 000000004EE8: DBFE0400 2C000014
	ds_read_b128 a[48:51], v20 offset:2048                     // 000000004EF0: DBFE0800 30000014
	ds_read_b128 a[52:55], v20 offset:3072                     // 000000004EF8: DBFE0C00 34000014
	ds_read_b128 a[56:59], v20 offset:4096                     // 000000004F00: DBFE1000 38000014
	ds_read_b128 a[60:63], v20 offset:5120                     // 000000004F08: DBFE1400 3C000014
	ds_read_b128 a[64:67], v20 offset:6144                     // 000000004F10: DBFE1800 40000014
	ds_read_b128 a[68:71], v20 offset:7168                     // 000000004F18: DBFE1C00 44000014
	ds_read_b128 a[72:75], v20 offset:8192                     // 000000004F20: DBFE2000 48000014
	s_addk_i32 s70, 0x1                                        // 000000004F28: B7460001
	s_cmp_lt_i32 s70, s71                                      // 000000004F2C: BF044746
	s_cbranch_scc0 label_231C                                  // 000000004F30: BF84FDBA
	s_waitcnt lgkmcnt(4)                                       // 000000004F34: BF8CC47F
	v_mfma_f32_16x16x128_f8f6f4 v[38:41], a[40:47], a[0:7], 0  // 000000004F38: D3AD0026 1A020128
	v_mul_u32_u24_e64 v32, v24, s68                            // 000000004F40: D1080020 00008918
	v_mul_u32_u24_e64 v33, v25, s68                            // 000000004F48: D1080021 00008919
	v_mul_hi_u32 v192, v24, s68                                // 000000004F50: D28600C0 00008918
	v_mul_hi_u32 v193, v25, s68                                // 000000004F58: D28600C1 00008919
	v_add_co_u32_e32 v32, vcc, v32, v1                         // 000000004F60: 32400320
	v_addc_co_u32_e64 v192, vcc, v192, 0, vcc                  // 000000004F64: D11C6AC0 01A901C0
	v_add_co_u32_e32 v33, vcc, v33, v1                         // 000000004F6C: 32420321
	v_addc_co_u32_e64 v193, vcc, v193, 0, vcc                  // 000000004F70: D11C6AC1 01A901C1
	buffer_load_dword v24, v26, s[24:27], 0 offen              // 000000004F78: E0501000 8006181A
	buffer_load_dword v25, v27, s[24:27], 0 offen              // 000000004F80: E0501000 8006191B
	ds_read_b128 a[80:83], v20 offset:9216                     // 000000004F88: DBFE2400 50000014
	v_mfma_f32_16x16x128_f8f6f4 v[38:41], a[48:55], a[8:15], v[38:41]// 000000004F90: D3AD0026 1C9A1130
	s_mov_b32 m0, s54                                          // 000000004F98: BEFC0036
	s_mov_b32 s59, 0                                           // 000000004F9C: BEBB0080
	v_mov_b32_e32 v28, s59                                     // 000000004FA0: 7E38023B
	v_add_co_u32_e32 v218, vcc, s20, v32                       // 000000004FA4: 33B44014
	v_addc_co_u32_e32 v219, vcc, v215, v192, vcc               // 000000004FA8: 39B781D7
	v_add_co_u32_e32 v218, vcc, v218, v28                      // 000000004FAC: 33B439DA
	v_addc_co_u32_e64 v219, vcc, v219, 0, vcc                  // 000000004FB0: D11C6ADB 01A901DB
	s_add_i32 m0, m0, s59                                      // 000000004FB8: 817C3B7C
	global_load_lds_dwordx4 v[218:219], off                    // 000000004FBC: DDF48000 007F00DA
	s_add_i32 m0, m0, 0x3c0                                    // 000000004FC4: 817CFF7C 000003C0
	s_waitcnt lgkmcnt(0)                                       // 000000004FCC: BF8CC07F
	v_mfma_f32_16x16x128_f8f6f4 v[38:41], a[56:63], a[16:23], v[38:41]// 000000004FD0: D3AD0026 1C9A2138
	ds_read_b128 a[84:87], v20 offset:10240                    // 000000004FD8: DBFE2800 54000014
	v_mfma_f32_16x16x128_f8f6f4 v[38:41], a[64:71], a[24:31], v[38:41]// 000000004FE0: D3AD0026 1C9A3140
	s_mov_b32 s59, 64                                          // 000000004FE8: BEBB00C0
	v_mov_b32_e32 v28, s59                                     // 000000004FEC: 7E38023B
	v_add_co_u32_e32 v218, vcc, s20, v32                       // 000000004FF0: 33B44014
	v_addc_co_u32_e32 v219, vcc, v215, v192, vcc               // 000000004FF4: 39B781D7
	v_add_co_u32_e32 v218, vcc, v218, v28                      // 000000004FF8: 33B439DA
	v_addc_co_u32_e64 v219, vcc, v219, 0, vcc                  // 000000004FFC: D11C6ADB 01A901DB
	s_add_i32 m0, m0, s59                                      // 000000005004: 817C3B7C
	global_load_lds_dwordx4 v[218:219], off                    // 000000005008: DDF48000 007F00DA
	s_add_i32 m0, m0, 0x380                                    // 000000005010: 817CFF7C 00000380
	s_waitcnt lgkmcnt(0)                                       // 000000005018: BF8CC07F
	v_mfma_f32_16x16x128_f8f6f4 v[38:41], a[72:79], a[32:39], v[38:41]// 00000000501C: D3AD0026 1C9A4148
	ds_read_b128 a[88:91], v20 offset:11264                    // 000000005024: DBFE2C00 58000014
	s_mov_b32 s59, 0x80                                        // 00000000502C: BEBB00FF 00000080
	v_mov_b32_e32 v28, s59                                     // 000000005034: 7E38023B
	v_add_co_u32_e32 v218, vcc, s20, v32                       // 000000005038: 33B44014
	v_addc_co_u32_e32 v219, vcc, v215, v192, vcc               // 00000000503C: 39B781D7
	v_add_co_u32_e32 v218, vcc, v218, v28                      // 000000005040: 33B439DA
	v_addc_co_u32_e64 v219, vcc, v219, 0, vcc                  // 000000005044: D11C6ADB 01A901DB
	s_add_i32 m0, m0, s59                                      // 00000000504C: 817C3B7C
	global_load_lds_dwordx4 v[218:219], off                    // 000000005050: DDF48000 007F00DA
	s_add_i32 m0, m0, 0x340                                    // 000000005058: 817CFF7C 00000340
	s_mov_b32 s59, 0xc0                                        // 000000005060: BEBB00FF 000000C0
	v_mov_b32_e32 v28, s59                                     // 000000005068: 7E38023B
	v_add_co_u32_e32 v218, vcc, s20, v32                       // 00000000506C: 33B44014
	v_addc_co_u32_e32 v219, vcc, v215, v192, vcc               // 000000005070: 39B781D7
	v_add_co_u32_e32 v218, vcc, v218, v28                      // 000000005074: 33B439DA
	v_addc_co_u32_e64 v219, vcc, v219, 0, vcc                  // 000000005078: D11C6ADB 01A901DB
	s_add_i32 m0, m0, s59                                      // 000000005080: 817C3B7C
	global_load_lds_dwordx4 v[218:219], off                    // 000000005084: DDF48000 007F00DA
	s_add_i32 m0, m0, 0x300                                    // 00000000508C: 817CFF7C 00000300
	s_mov_b32 s59, 0x100                                       // 000000005094: BEBB00FF 00000100
	v_mov_b32_e32 v28, s59                                     // 00000000509C: 7E38023B
	v_add_co_u32_e32 v218, vcc, s20, v32                       // 0000000050A0: 33B44014
	v_addc_co_u32_e32 v219, vcc, v215, v192, vcc               // 0000000050A4: 39B781D7
	v_add_co_u32_e32 v218, vcc, v218, v28                      // 0000000050A8: 33B439DA
	v_addc_co_u32_e64 v219, vcc, v219, 0, vcc                  // 0000000050AC: D11C6ADB 01A901DB
	s_add_i32 m0, m0, s59                                      // 0000000050B4: 817C3B7C
	global_load_lds_dwordx4 v[218:219], off                    // 0000000050B8: DDF48000 007F00DA
	s_add_i32 m0, m0, 0x2c0                                    // 0000000050C0: 817CFF7C 000002C0
	s_mov_b32 s59, 0x140                                       // 0000000050C8: BEBB00FF 00000140
	v_mov_b32_e32 v28, s59                                     // 0000000050D0: 7E38023B
	v_add_co_u32_e32 v218, vcc, s20, v32                       // 0000000050D4: 33B44014
	v_addc_co_u32_e32 v219, vcc, v215, v192, vcc               // 0000000050D8: 39B781D7
	v_add_co_u32_e32 v218, vcc, v218, v28                      // 0000000050DC: 33B439DA
	v_addc_co_u32_e64 v219, vcc, v219, 0, vcc                  // 0000000050E0: D11C6ADB 01A901DB
	s_add_i32 m0, m0, s59                                      // 0000000050E8: 817C3B7C
	global_load_lds_dwordx4 v[218:219], off                    // 0000000050EC: DDF48000 007F00DA
	s_add_i32 m0, m0, 0x280                                    // 0000000050F4: 817CFF7C 00000280
	s_mov_b32 s59, 0x180                                       // 0000000050FC: BEBB00FF 00000180
	v_mov_b32_e32 v28, s59                                     // 000000005104: 7E38023B
	v_add_co_u32_e32 v218, vcc, s20, v32                       // 000000005108: 33B44014
	v_addc_co_u32_e32 v219, vcc, v215, v192, vcc               // 00000000510C: 39B781D7
	v_add_co_u32_e32 v218, vcc, v218, v28                      // 000000005110: 33B439DA
	v_addc_co_u32_e64 v219, vcc, v219, 0, vcc                  // 000000005114: D11C6ADB 01A901DB
	s_add_i32 m0, m0, s59                                      // 00000000511C: 817C3B7C
	global_load_lds_dwordx4 v[218:219], off                    // 000000005120: DDF48000 007F00DA
	s_add_i32 m0, m0, 0x240                                    // 000000005128: 817CFF7C 00000240
	s_mov_b32 s59, 0x1c0                                       // 000000005130: BEBB00FF 000001C0
	v_mov_b32_e32 v28, s59                                     // 000000005138: 7E38023B
	v_add_co_u32_e32 v218, vcc, s20, v32                       // 00000000513C: 33B44014
	v_addc_co_u32_e32 v219, vcc, v215, v192, vcc               // 000000005140: 39B781D7
	v_add_co_u32_e32 v218, vcc, v218, v28                      // 000000005144: 33B439DA
	v_addc_co_u32_e64 v219, vcc, v219, 0, vcc                  // 000000005148: D11C6ADB 01A901DB
	s_add_i32 m0, m0, s59                                      // 000000005150: 817C3B7C
	global_load_lds_dwordx4 v[218:219], off                    // 000000005154: DDF48000 007F00DA
	s_add_i32 m0, m0, 0x200                                    // 00000000515C: 817CFF7C 00000200
	s_mov_b32 s59, 0x200                                       // 000000005164: BEBB00FF 00000200
	v_mov_b32_e32 v28, s59                                     // 00000000516C: 7E38023B
	v_add_co_u32_e32 v218, vcc, s20, v32                       // 000000005170: 33B44014
	v_addc_co_u32_e32 v219, vcc, v215, v192, vcc               // 000000005174: 39B781D7
	v_add_co_u32_e32 v218, vcc, v218, v28                      // 000000005178: 33B439DA
	v_addc_co_u32_e64 v219, vcc, v219, 0, vcc                  // 00000000517C: D11C6ADB 01A901DB
	s_add_i32 m0, m0, s59                                      // 000000005184: 817C3B7C
	global_load_lds_dwordx4 v[218:219], off                    // 000000005188: DDF48000 007F00DA
	s_add_i32 m0, m0, 0x1c0                                    // 000000005190: 817CFF7C 000001C0
	s_waitcnt lgkmcnt(0)                                       // 000000005198: BF8CC07F
	ds_read_b128 a[92:95], v20 offset:12288                    // 00000000519C: DBFE3000 5C000014
	ds_read_b128 a[96:99], v20 offset:13312                    // 0000000051A4: DBFE3400 60000014
	ds_read_b128 a[100:103], v20 offset:14336                  // 0000000051AC: DBFE3800 64000014
	ds_read_b128 a[104:107], v20 offset:15360                  // 0000000051B4: DBFE3C00 68000014
	ds_read_b128 a[108:111], v20 offset:16384                  // 0000000051BC: DBFE4000 6C000014
	ds_read_b128 a[112:115], v20 offset:17408                  // 0000000051C4: DBFE4400 70000014
	v_add_u32_e32 v26, s73, v26                                // 0000000051CC: 68343449
	v_add_u32_e32 v27, s73, v27                                // 0000000051D0: 68363649
	s_waitcnt lgkmcnt(0)                                       // 0000000051D4: BF8CC07F
	v_mfma_f32_16x16x128_f8f6f4 v[42:45], a[80:87], a[0:7], 0  // 0000000051D8: D3AD002A 1A020150
	s_mov_b32 m0, s55                                          // 0000000051E0: BEFC0037
	s_mov_b32 s59, 0                                           // 0000000051E4: BEBB0080
	v_mov_b32_e32 v28, s59                                     // 0000000051E8: 7E38023B
	v_add_co_u32_e32 v218, vcc, s20, v33                       // 0000000051EC: 33B44214
	v_addc_co_u32_e32 v219, vcc, v215, v193, vcc               // 0000000051F0: 39B783D7
	v_add_co_u32_e32 v218, vcc, v218, v28                      // 0000000051F4: 33B439DA
	v_addc_co_u32_e64 v219, vcc, v219, 0, vcc                  // 0000000051F8: D11C6ADB 01A901DB
	s_add_i32 m0, m0, s59                                      // 000000005200: 817C3B7C
	global_load_lds_dwordx4 v[218:219], off                    // 000000005204: DDF48000 007F00DA
	s_add_i32 m0, m0, 0x3c0                                    // 00000000520C: 817CFF7C 000003C0
	s_waitcnt lgkmcnt(0)                                       // 000000005214: BF8CC07F
	v_mfma_f32_16x16x128_f8f6f4 v[42:45], a[88:95], a[8:15], v[42:45]// 000000005218: D3AD002A 1CAA1158
	v_mfma_f32_16x16x128_f8f6f4 v[42:45], a[96:103], a[16:23], v[42:45]// 000000005220: D3AD002A 1CAA2160
	s_mov_b32 m0, s55                                          // 000000005228: BEFC0037
	s_mov_b32 s59, 0                                           // 00000000522C: BEBB0080
	v_mov_b32_e32 v28, s59                                     // 000000005230: 7E38023B
	v_add_co_u32_e32 v218, vcc, s20, v33                       // 000000005234: 33B44214
	v_addc_co_u32_e32 v219, vcc, v215, v193, vcc               // 000000005238: 39B783D7
	v_add_co_u32_e32 v218, vcc, v218, v28                      // 00000000523C: 33B439DA
	v_addc_co_u32_e64 v219, vcc, v219, 0, vcc                  // 000000005240: D11C6ADB 01A901DB
	s_add_i32 m0, m0, s59                                      // 000000005248: 817C3B7C
	global_load_lds_dwordx4 v[218:219], off                    // 00000000524C: DDF48000 007F00DA
	s_add_i32 m0, m0, 0x3c0                                    // 000000005254: 817CFF7C 000003C0
	s_waitcnt lgkmcnt(0)                                       // 00000000525C: BF8CC07F
	v_mfma_f32_16x16x128_f8f6f4 v[42:45], a[104:111], a[24:31], v[42:45]// 000000005260: D3AD002A 1CAA3168
	v_mfma_f32_16x16x128_f8f6f4 v[42:45], a[112:119], a[32:39], v[42:45]// 000000005268: D3AD002A 1CAA4170
	s_mov_b32 m0, s55                                          // 000000005270: BEFC0037
	s_mov_b32 s59, 0                                           // 000000005274: BEBB0080
	v_mov_b32_e32 v28, s59                                     // 000000005278: 7E38023B
	v_add_co_u32_e32 v218, vcc, s20, v33                       // 00000000527C: 33B44214
	v_addc_co_u32_e32 v219, vcc, v215, v193, vcc               // 000000005280: 39B783D7
	v_add_co_u32_e32 v218, vcc, v218, v28                      // 000000005284: 33B439DA
	v_addc_co_u32_e64 v219, vcc, v219, 0, vcc                  // 000000005288: D11C6ADB 01A901DB
	s_add_i32 m0, m0, s59                                      // 000000005290: 817C3B7C
	global_load_lds_dwordx4 v[218:219], off                    // 000000005294: DDF48000 007F00DA
	s_add_i32 m0, m0, 0x3c0                                    // 00000000529C: 817CFF7C 000003C0
	s_waitcnt lgkmcnt(0)                                       // 0000000052A4: BF8CC07F
	s_mov_b32 m0, s55                                          // 0000000052A8: BEFC0037
	s_mov_b32 s59, 0                                           // 0000000052AC: BEBB0080
	v_mov_b32_e32 v28, s59                                     // 0000000052B0: 7E38023B
	v_add_co_u32_e32 v218, vcc, s20, v33                       // 0000000052B4: 33B44214
	v_addc_co_u32_e32 v219, vcc, v215, v193, vcc               // 0000000052B8: 39B783D7
	v_add_co_u32_e32 v218, vcc, v218, v28                      // 0000000052BC: 33B439DA
	v_addc_co_u32_e64 v219, vcc, v219, 0, vcc                  // 0000000052C0: D11C6ADB 01A901DB
	s_add_i32 m0, m0, s59                                      // 0000000052C8: 817C3B7C
	global_load_lds_dwordx4 v[218:219], off                    // 0000000052CC: DDF48000 007F00DA
	s_add_i32 m0, m0, 0x3c0                                    // 0000000052D4: 817CFF7C 000003C0
	s_mov_b32 s59, 64                                          // 0000000052DC: BEBB00C0
	v_mov_b32_e32 v28, s59                                     // 0000000052E0: 7E38023B
	v_add_co_u32_e32 v218, vcc, s20, v33                       // 0000000052E4: 33B44214
	v_addc_co_u32_e32 v219, vcc, v215, v193, vcc               // 0000000052E8: 39B783D7
	v_add_co_u32_e32 v218, vcc, v218, v28                      // 0000000052EC: 33B439DA
	v_addc_co_u32_e64 v219, vcc, v219, 0, vcc                  // 0000000052F0: D11C6ADB 01A901DB
	s_add_i32 m0, m0, s59                                      // 0000000052F8: 817C3B7C
	global_load_lds_dwordx4 v[218:219], off                    // 0000000052FC: DDF48000 007F00DA
	s_add_i32 m0, m0, 0x380                                    // 000000005304: 817CFF7C 00000380
	s_mov_b32 s59, 0x80                                        // 00000000530C: BEBB00FF 00000080
	v_mov_b32_e32 v28, s59                                     // 000000005314: 7E38023B
	v_add_co_u32_e32 v218, vcc, s20, v33                       // 000000005318: 33B44214
	v_addc_co_u32_e32 v219, vcc, v215, v193, vcc               // 00000000531C: 39B783D7
	v_add_co_u32_e32 v218, vcc, v218, v28                      // 000000005320: 33B439DA
	v_addc_co_u32_e64 v219, vcc, v219, 0, vcc                  // 000000005324: D11C6ADB 01A901DB
	s_add_i32 m0, m0, s59                                      // 00000000532C: 817C3B7C
	global_load_lds_dwordx4 v[218:219], off                    // 000000005330: DDF48000 007F00DA
	s_add_i32 m0, m0, 0x340                                    // 000000005338: 817CFF7C 00000340
	s_mov_b32 s59, 0xc0                                        // 000000005340: BEBB00FF 000000C0
	v_mov_b32_e32 v28, s59                                     // 000000005348: 7E38023B
	v_add_co_u32_e32 v218, vcc, s20, v33                       // 00000000534C: 33B44214
	v_addc_co_u32_e32 v219, vcc, v215, v193, vcc               // 000000005350: 39B783D7
	v_add_co_u32_e32 v218, vcc, v218, v28                      // 000000005354: 33B439DA
	v_addc_co_u32_e64 v219, vcc, v219, 0, vcc                  // 000000005358: D11C6ADB 01A901DB
	s_add_i32 m0, m0, s59                                      // 000000005360: 817C3B7C
	global_load_lds_dwordx4 v[218:219], off                    // 000000005364: DDF48000 007F00DA
	s_add_i32 m0, m0, 0x300                                    // 00000000536C: 817CFF7C 00000300
	s_mov_b32 s59, 0x100                                       // 000000005374: BEBB00FF 00000100
	v_mov_b32_e32 v28, s59                                     // 00000000537C: 7E38023B
	v_add_co_u32_e32 v218, vcc, s20, v33                       // 000000005380: 33B44214
	v_addc_co_u32_e32 v219, vcc, v215, v193, vcc               // 000000005384: 39B783D7
	v_add_co_u32_e32 v218, vcc, v218, v28                      // 000000005388: 33B439DA
	v_addc_co_u32_e64 v219, vcc, v219, 0, vcc                  // 00000000538C: D11C6ADB 01A901DB
	s_add_i32 m0, m0, s59                                      // 000000005394: 817C3B7C
	global_load_lds_dwordx4 v[218:219], off                    // 000000005398: DDF48000 007F00DA
	s_add_i32 m0, m0, 0x2c0                                    // 0000000053A0: 817CFF7C 000002C0
	s_mov_b32 s59, 0x140                                       // 0000000053A8: BEBB00FF 00000140
	v_mov_b32_e32 v28, s59                                     // 0000000053B0: 7E38023B
	v_add_co_u32_e32 v218, vcc, s20, v33                       // 0000000053B4: 33B44214
	v_addc_co_u32_e32 v219, vcc, v215, v193, vcc               // 0000000053B8: 39B783D7
	v_add_co_u32_e32 v218, vcc, v218, v28                      // 0000000053BC: 33B439DA
	v_addc_co_u32_e64 v219, vcc, v219, 0, vcc                  // 0000000053C0: D11C6ADB 01A901DB
	s_add_i32 m0, m0, s59                                      // 0000000053C8: 817C3B7C
	global_load_lds_dwordx4 v[218:219], off                    // 0000000053CC: DDF48000 007F00DA
	s_add_i32 m0, m0, 0x280                                    // 0000000053D4: 817CFF7C 00000280
	s_mov_b32 s59, 0x180                                       // 0000000053DC: BEBB00FF 00000180
	v_mov_b32_e32 v28, s59                                     // 0000000053E4: 7E38023B
	v_add_co_u32_e32 v218, vcc, s20, v33                       // 0000000053E8: 33B44214
	v_addc_co_u32_e32 v219, vcc, v215, v193, vcc               // 0000000053EC: 39B783D7
	v_add_co_u32_e32 v218, vcc, v218, v28                      // 0000000053F0: 33B439DA
	v_addc_co_u32_e64 v219, vcc, v219, 0, vcc                  // 0000000053F4: D11C6ADB 01A901DB
	s_add_i32 m0, m0, s59                                      // 0000000053FC: 817C3B7C
	global_load_lds_dwordx4 v[218:219], off                    // 000000005400: DDF48000 007F00DA
	s_add_i32 m0, m0, 0x240                                    // 000000005408: 817CFF7C 00000240
	s_mov_b32 s59, 0x1c0                                       // 000000005410: BEBB00FF 000001C0
	v_mov_b32_e32 v28, s59                                     // 000000005418: 7E38023B
	v_add_co_u32_e32 v218, vcc, s20, v33                       // 00000000541C: 33B44214
	v_addc_co_u32_e32 v219, vcc, v215, v193, vcc               // 000000005420: 39B783D7
	v_add_co_u32_e32 v218, vcc, v218, v28                      // 000000005424: 33B439DA
	v_addc_co_u32_e64 v219, vcc, v219, 0, vcc                  // 000000005428: D11C6ADB 01A901DB
	s_add_i32 m0, m0, s59                                      // 000000005430: 817C3B7C
	global_load_lds_dwordx4 v[218:219], off                    // 000000005434: DDF48000 007F00DA
	s_add_i32 m0, m0, 0x200                                    // 00000000543C: 817CFF7C 00000200
	s_mov_b32 s59, 0x200                                       // 000000005444: BEBB00FF 00000200
	v_mov_b32_e32 v28, s59                                     // 00000000544C: 7E38023B
	v_add_co_u32_e32 v218, vcc, s20, v33                       // 000000005450: 33B44214
	v_addc_co_u32_e32 v219, vcc, v215, v193, vcc               // 000000005454: 39B783D7
	v_add_co_u32_e32 v218, vcc, v218, v28                      // 000000005458: 33B439DA
	v_addc_co_u32_e64 v219, vcc, v219, 0, vcc                  // 00000000545C: D11C6ADB 01A901DB
	s_add_i32 m0, m0, s59                                      // 000000005464: 817C3B7C
	global_load_lds_dwordx4 v[218:219], off                    // 000000005468: DDF48000 007F00DA
	s_add_i32 m0, m0, 0x1c0                                    // 000000005470: 817CFF7C 000001C0
	s_waitcnt lgkmcnt(0)                                       // 000000005478: BF8CC07F
	s_nop 2                                                    // 00000000547C: BF800002
	v_mov_b32_e32 v29, v38                                     // 000000005480: 7E3A0326
	v_max3_f32 v29, v38, v39, v29                              // 000000005484: D1D3001D 04764F26
	v_max3_f32 v29, v40, v41, v29                              // 00000000548C: D1D3001D 04765328
	v_max3_f32 v29, v42, v43, v29                              // 000000005494: D1D3001D 0476572A
	v_max3_f32 v29, v44, v45, v29                              // 00000000549C: D1D3001D 04765B2C
	v_mov_b32_e32 v28, v29                                     // 0000000054A4: 7E38031D
	v_mov_b32_e32 v29, v29                                     // 0000000054A8: 7E3A031D
	s_nop 1                                                    // 0000000054AC: BF800001
	v_permlane16_swap_b32_e32 v28, v29                         // 0000000054B0: 7E38B31D
	v_mov_b32_e32 v31, v28                                     // 0000000054B4: 7E3E031C
	v_mov_b32_e32 v30, v29                                     // 0000000054B8: 7E3C031D
	s_nop 1                                                    // 0000000054BC: BF800001
	v_permlane32_swap_b32_e32 v28, v29                         // 0000000054C0: 7E38B51D
	v_permlane32_swap_b32_e32 v30, v31                         // 0000000054C4: 7E3CB51F
	v_max3_f32 v29, v28, v29, v29                              // 0000000054C8: D1D3001D 04763B1C
	v_max3_f32 v29, v30, v31, v29                              // 0000000054D0: D1D3001D 04763F1E
	ds_write_b32 v36, v29                                      // 0000000054D8: D81A0000 00001D24
	s_waitcnt lgkmcnt(0)                                       // 0000000054E0: BF8CC07F
	s_barrier                                                  // 0000000054E4: BF8A0000
	ds_read_b32 v46, v37                                       // 0000000054E8: D86C0000 2E000025
	ds_read_b32 v47, v37 offset:256                            // 0000000054F0: D86C0100 2F000025
	ds_read_b32 v48, v37 offset:512                            // 0000000054F8: D86C0200 30000025
	ds_read_b32 v49, v37 offset:768                            // 000000005500: D86C0300 31000025
	s_waitcnt lgkmcnt(0)                                       // 000000005508: BF8CC07F
	v_max3_f32 v29, v46, v47, v29                              // 00000000550C: D1D3001D 04765F2E
	v_max3_f32 v29, v48, v49, v29                              // 000000005514: D1D3001D 04766330
	v_mov_b32_e32 v28, 0xff800000                              // 00000000551C: 7E3802FF FF800000
	v_cmp_eq_u32_e64 s[36:37], v28, v2                         // 000000005524: D0CA0024 0002051C
	v_max_f32_e32 v29, v29, v2                                 // 00000000552C: 163A051D
	v_sub_f32_e32 v18, v2, v29                                 // 000000005530: 04243B02
	v_cndmask_b32_e64 v18, v18, 0, s[36:37]                    // 000000005534: D1000012 00910112
	v_mov_b32_e32 v2, v29                                      // 00000000553C: 7E04031D
	v_mul_f32_e32 v29, s96, v29                                // 000000005540: 0A3A3A60
	v_mul_f32_e32 v18, s96, v18                                // 000000005544: 0A242460
	v_exp_f32_e32 v18, v18                                     // 000000005548: 7E244112
	v_add_f32_e64 v30, 0, -v29                                 // 00000000554C: D101001E 40023A80
	v_mov_b32_e32 v31, v30                                     // 000000005554: 7E3E031E
	v_pk_fma_f32 v[38:39], v[38:39], s[96:97], v[30:31]        // 000000005558: D3B04026 1C78C126
	v_pk_fma_f32 v[40:41], v[40:41], s[96:97], v[30:31]        // 000000005560: D3B04028 1C78C128
	v_pk_fma_f32 v[42:43], v[42:43], s[96:97], v[30:31]        // 000000005568: D3B0402A 1C78C12A
	v_pk_fma_f32 v[44:45], v[44:45], s[96:97], v[30:31]        // 000000005570: D3B0402C 1C78C12C
	v_exp_f32_e32 v38, v38                                     // 000000005578: 7E4C4126
	v_exp_f32_e32 v39, v39                                     // 00000000557C: 7E4E4127
	v_exp_f32_e32 v40, v40                                     // 000000005580: 7E504128
	v_exp_f32_e32 v41, v41                                     // 000000005584: 7E524129
	v_exp_f32_e32 v42, v42                                     // 000000005588: 7E54412A
	v_exp_f32_e32 v43, v43                                     // 00000000558C: 7E56412B
	v_exp_f32_e32 v44, v44                                     // 000000005590: 7E58412C
	v_exp_f32_e32 v45, v45                                     // 000000005594: 7E5A412D
	v_mul_f32_e32 v4, v18, v4                                  // 000000005598: 0A080912
	v_mov_b32_e32 v28, v38                                     // 00000000559C: 7E380326
	v_add_f32_e32 v28, v39, v28                                // 0000000055A0: 02383927
	v_add_f32_e32 v28, v40, v28                                // 0000000055A4: 02383928
	v_add_f32_e32 v28, v41, v28                                // 0000000055A8: 02383929
	v_add_f32_e32 v28, v42, v28                                // 0000000055AC: 0238392A
	v_add_f32_e32 v28, v43, v28                                // 0000000055B0: 0238392B
	v_add_f32_e32 v28, v44, v28                                // 0000000055B4: 0238392C
	v_add_f32_e32 v28, v45, v28                                // 0000000055B8: 0238392D
	v_add_f32_e32 v4, v28, v4                                  // 0000000055BC: 0208091C
	v_cvt_pk_fp8_f32 v38, v38, v39                             // 0000000055C0: D2A20026 00024F26
	v_cvt_pk_fp8_f32 v38, v40, v41 op_sel:[0,0,1]              // 0000000055C8: D2A24026 00025328
	v_cvt_pk_fp8_f32 v39, v42, v43                             // 0000000055D0: D2A20027 0002572A
	v_cvt_pk_fp8_f32 v39, v44, v45 op_sel:[0,0,1]              // 0000000055D8: D2A24027 00025B2C
	s_nop 0                                                    // 0000000055E0: BF800000
	v_permlane16_swap_b32_e32 v38, v39                         // 0000000055E4: 7E4CB327
	ds_write_b64 v34, v[38:39]                                 // 0000000055E8: D89A0000 00002622
	s_waitcnt lgkmcnt(0)                                       // 0000000055F0: BF8CC07F
	s_barrier                                                  // 0000000055F4: BF8A0000
	ds_read_b64 v[38:39], v35                                  // 0000000055F8: D8EC0000 26000023
	ds_read_b64 v[40:41], v35 offset:256                       // 000000005600: D8EC0100 28000023
	ds_read_b64 v[42:43], v35 offset:1024                      // 000000005608: D8EC0400 2A000023
	ds_read_b64 v[44:45], v35 offset:1280                      // 000000005610: D8EC0500 2C000023
	v_mul_f32_e32 v70, v18, v70                                // 000000005618: 0A8C8D12
	v_mul_f32_e32 v71, v18, v71                                // 00000000561C: 0A8E8F12
	v_mul_f32_e32 v72, v18, v72                                // 000000005620: 0A909112
	v_mul_f32_e32 v73, v18, v73                                // 000000005624: 0A929312
	v_mul_f32_e32 v74, v18, v74                                // 000000005628: 0A949512
	v_mul_f32_e32 v75, v18, v75                                // 00000000562C: 0A969712
	v_mul_f32_e32 v76, v18, v76                                // 000000005630: 0A989912
	v_mul_f32_e32 v77, v18, v77                                // 000000005634: 0A9A9B12
	v_mul_f32_e32 v78, v18, v78                                // 000000005638: 0A9C9D12
	v_mul_f32_e32 v79, v18, v79                                // 00000000563C: 0A9E9F12
	v_mul_f32_e32 v80, v18, v80                                // 000000005640: 0AA0A112
	v_mul_f32_e32 v81, v18, v81                                // 000000005644: 0AA2A312
	v_mul_f32_e32 v82, v18, v82                                // 000000005648: 0AA4A512
	v_mul_f32_e32 v83, v18, v83                                // 00000000564C: 0AA6A712
	v_mul_f32_e32 v84, v18, v84                                // 000000005650: 0AA8A912
	v_mul_f32_e32 v85, v18, v85                                // 000000005654: 0AAAAB12
	v_mul_f32_e32 v86, v18, v86                                // 000000005658: 0AACAD12
	v_mul_f32_e32 v87, v18, v87                                // 00000000565C: 0AAEAF12
	v_mul_f32_e32 v88, v18, v88                                // 000000005660: 0AB0B112
	v_mul_f32_e32 v89, v18, v89                                // 000000005664: 0AB2B312
	v_mul_f32_e32 v90, v18, v90                                // 000000005668: 0AB4B512
	v_mul_f32_e32 v91, v18, v91                                // 00000000566C: 0AB6B712
	v_mul_f32_e32 v92, v18, v92                                // 000000005670: 0AB8B912
	v_mul_f32_e32 v93, v18, v93                                // 000000005674: 0ABABB12
	v_mul_f32_e32 v94, v18, v94                                // 000000005678: 0ABCBD12
	v_mul_f32_e32 v95, v18, v95                                // 00000000567C: 0ABEBF12
	v_mul_f32_e32 v96, v18, v96                                // 000000005680: 0AC0C112
	v_mul_f32_e32 v97, v18, v97                                // 000000005684: 0AC2C312
	v_mul_f32_e32 v98, v18, v98                                // 000000005688: 0AC4C512
	v_mul_f32_e32 v99, v18, v99                                // 00000000568C: 0AC6C712
	v_mul_f32_e32 v100, v18, v100                              // 000000005690: 0AC8C912
	v_mul_f32_e32 v101, v18, v101                              // 000000005694: 0ACACB12
	s_waitcnt lgkmcnt(0)                                       // 000000005698: BF8CC07F
	v_mfma_f32_16x16x128_f8f6f4 v[70:73], a[120:127], v[38:45], v[70:73]// 00000000569C: D3AD0046 0D1A4D78
	v_mfma_f32_16x16x128_f8f6f4 v[74:77], a[128:135], v[38:45], v[74:77]// 0000000056A4: D3AD004A 0D2A4D80
	v_mfma_f32_16x16x128_f8f6f4 v[78:81], a[136:143], v[38:45], v[78:81]// 0000000056AC: D3AD004E 0D3A4D88
	v_mfma_f32_16x16x128_f8f6f4 v[82:85], a[144:151], v[38:45], v[82:85]// 0000000056B4: D3AD0052 0D4A4D90
	v_mfma_f32_16x16x128_f8f6f4 v[86:89], a[152:159], v[38:45], v[86:89]// 0000000056BC: D3AD0056 0D5A4D98
	v_mfma_f32_16x16x128_f8f6f4 v[90:93], a[160:167], v[38:45], v[90:93]// 0000000056C4: D3AD005A 0D6A4DA0
	v_mfma_f32_16x16x128_f8f6f4 v[94:97], a[168:175], v[38:45], v[94:97]// 0000000056CC: D3AD005E 0D7A4DA8
	v_mfma_f32_16x16x128_f8f6f4 v[98:101], a[176:183], v[38:45], v[98:101]// 0000000056D4: D3AD0062 0D8A4DB0
	s_waitcnt lgkmcnt(0)                                       // 0000000056DC: BF8CC07F
	s_waitcnt vmcnt(2)                                         // 0000000056E0: BF8C0F72
	s_barrier                                                  // 0000000056E4: BF8A0000
	ds_read_b64_tr_b8 a[120:121], v10                          // 0000000056E8: DBC40000 7800000A
	ds_read_b64_tr_b8 a[122:123], v11                          // 0000000056F0: DBC40000 7A00000B
	ds_read_b64_tr_b8 a[124:125], v10 offset:36864             // 0000000056F8: DBC49000 7C00000A
	ds_read_b64_tr_b8 a[126:127], v11 offset:36864             // 000000005700: DBC49000 7E00000B
	ds_read_b64_tr_b8 a[128:129], v10 offset:16                // 000000005708: DBC40010 8000000A
	ds_read_b64_tr_b8 a[130:131], v11 offset:16                // 000000005710: DBC40010 8200000B
	ds_read_b64_tr_b8 a[132:133], v10 offset:36880             // 000000005718: DBC49010 8400000A
	ds_read_b64_tr_b8 a[134:135], v11 offset:36880             // 000000005720: DBC49010 8600000B
	ds_read_b64_tr_b8 a[136:137], v12                          // 000000005728: DBC40000 8800000C
	ds_read_b64_tr_b8 a[138:139], v13                          // 000000005730: DBC40000 8A00000D
	ds_read_b64_tr_b8 a[140:141], v12 offset:36864             // 000000005738: DBC49000 8C00000C
	ds_read_b64_tr_b8 a[142:143], v13 offset:36864             // 000000005740: DBC49000 8E00000D
	ds_read_b64_tr_b8 a[144:145], v12 offset:16                // 000000005748: DBC40010 9000000C
	ds_read_b64_tr_b8 a[146:147], v13 offset:16                // 000000005750: DBC40010 9200000D
	ds_read_b64_tr_b8 a[148:149], v12 offset:36880             // 000000005758: DBC49010 9400000C
	ds_read_b64_tr_b8 a[150:151], v13 offset:36880             // 000000005760: DBC49010 9600000D
	ds_read_b64_tr_b8 a[152:153], v10 offset:1024              // 000000005768: DBC40400 9800000A
	ds_read_b64_tr_b8 a[154:155], v11 offset:1024              // 000000005770: DBC40400 9A00000B
	ds_read_b64_tr_b8 a[156:157], v10 offset:37888             // 000000005778: DBC49400 9C00000A
	ds_read_b64_tr_b8 a[158:159], v11 offset:37888             // 000000005780: DBC49400 9E00000B
	ds_read_b64_tr_b8 a[160:161], v10 offset:1040              // 000000005788: DBC40410 A000000A
	ds_read_b64_tr_b8 a[162:163], v11 offset:1040              // 000000005790: DBC40410 A200000B
	ds_read_b64_tr_b8 a[164:165], v10 offset:37904             // 000000005798: DBC49410 A400000A
	ds_read_b64_tr_b8 a[166:167], v11 offset:37904             // 0000000057A0: DBC49410 A600000B
	ds_read_b64_tr_b8 a[168:169], v12 offset:1024              // 0000000057A8: DBC40400 A800000C
	ds_read_b64_tr_b8 a[170:171], v13 offset:1024              // 0000000057B0: DBC40400 AA00000D
	ds_read_b64_tr_b8 a[172:173], v12 offset:37888             // 0000000057B8: DBC49400 AC00000C
	ds_read_b64_tr_b8 a[174:175], v13 offset:37888             // 0000000057C0: DBC49400 AE00000D
	ds_read_b64_tr_b8 a[176:177], v12 offset:1040              // 0000000057C8: DBC40410 B000000C
	ds_read_b64_tr_b8 a[178:179], v13 offset:1040              // 0000000057D0: DBC40410 B200000D
	ds_read_b64_tr_b8 a[180:181], v12 offset:37904             // 0000000057D8: DBC49410 B400000C
	ds_read_b64_tr_b8 a[182:183], v13 offset:37904             // 0000000057E0: DBC49410 B600000D
	s_waitcnt lgkmcnt(0)                                       // 0000000057E8: BF8CC07F
	ds_read_b128 a[40:43], v21                                 // 0000000057EC: DBFE0000 28000015
	ds_read_b128 a[44:47], v21 offset:1024                     // 0000000057F4: DBFE0400 2C000015
	ds_read_b128 a[48:51], v21 offset:2048                     // 0000000057FC: DBFE0800 30000015
	ds_read_b128 a[52:55], v21 offset:3072                     // 000000005804: DBFE0C00 34000015
	ds_read_b128 a[56:59], v21 offset:4096                     // 00000000580C: DBFE1000 38000015
	ds_read_b128 a[60:63], v21 offset:5120                     // 000000005814: DBFE1400 3C000015
	ds_read_b128 a[64:67], v21 offset:6144                     // 00000000581C: DBFE1800 40000015
	ds_read_b128 a[68:71], v21 offset:7168                     // 000000005824: DBFE1C00 44000015
	ds_read_b128 a[72:75], v21 offset:8192                     // 00000000582C: DBFE2000 48000015
	s_addk_i32 s70, 0x1                                        // 000000005834: B7460001
	s_cmp_lt_i32 s70, s71                                      // 000000005838: BF044746
	s_cbranch_scc0 label_231C                                  // 00000000583C: BF84FB77
	s_branch label_2328                                        // 000000005840: BF82FB79

0000000000005844 <label_3544>:
	s_cmp_eq_i32 s48, 0                                        // 000000005844: BF008030
	s_cbranch_scc1 label_3DD8                                  // 000000005848: BF850201

000000000000584c <label_354C>:
	s_and_b32 s58, s71, 1                                      // 00000000584C: 863A8147
	s_cmp_eq_i32 s58, 1                                        // 000000005850: BF00813A
	s_cbranch_scc1 label_3954                                  // 000000005854: BF8500FF
	s_waitcnt lgkmcnt(0)                                       // 000000005858: BF8CC07F
	v_mfma_f32_16x16x128_f8f6f4 v[38:41], a[40:47], a[0:7], 0  // 00000000585C: D3AD0026 1A020128
	ds_read_b128 a[80:83], v21 offset:9216                     // 000000005864: DBFE2400 50000015
	v_mfma_f32_16x16x128_f8f6f4 v[38:41], a[48:55], a[8:15], v[38:41]// 00000000586C: D3AD0026 1C9A1130
	ds_read_b128 a[84:87], v21 offset:10240                    // 000000005874: DBFE2800 54000015
	v_mfma_f32_16x16x128_f8f6f4 v[38:41], a[56:63], a[16:23], v[38:41]// 00000000587C: D3AD0026 1C9A2138
	ds_read_b128 a[88:91], v21 offset:11264                    // 000000005884: DBFE2C00 58000015
	v_mfma_f32_16x16x128_f8f6f4 v[38:41], a[64:71], a[24:31], v[38:41]// 00000000588C: D3AD0026 1C9A3140
	ds_read_b128 a[92:95], v21 offset:12288                    // 000000005894: DBFE3000 5C000015
	v_mfma_f32_16x16x128_f8f6f4 v[38:41], a[72:79], a[32:39], v[38:41]// 00000000589C: D3AD0026 1C9A4148
	ds_read_b128 a[96:99], v21 offset:13312                    // 0000000058A4: DBFE3400 60000015
	ds_read_b128 a[100:103], v21 offset:14336                  // 0000000058AC: DBFE3800 64000015
	ds_read_b128 a[104:107], v21 offset:15360                  // 0000000058B4: DBFE3C00 68000015
	ds_read_b128 a[108:111], v21 offset:16384                  // 0000000058BC: DBFE4000 6C000015
	ds_read_b128 a[112:115], v21 offset:17408                  // 0000000058C4: DBFE4400 70000015
	s_waitcnt lgkmcnt(0)                                       // 0000000058CC: BF8CC07F
	v_mfma_f32_16x16x128_f8f6f4 v[42:45], a[80:87], a[0:7], 0  // 0000000058D0: D3AD002A 1A020150
	v_mfma_f32_16x16x128_f8f6f4 v[42:45], a[88:95], a[8:15], v[42:45]// 0000000058D8: D3AD002A 1CAA1158
	v_mfma_f32_16x16x128_f8f6f4 v[42:45], a[96:103], a[16:23], v[42:45]// 0000000058E0: D3AD002A 1CAA2160
	v_mfma_f32_16x16x128_f8f6f4 v[42:45], a[104:111], a[24:31], v[42:45]// 0000000058E8: D3AD002A 1CAA3168
	v_mfma_f32_16x16x128_f8f6f4 v[42:45], a[112:119], a[32:39], v[42:45]// 0000000058F0: D3AD002A 1CAA4170
	s_nop 8                                                    // 0000000058F8: BF800008
	s_and_b32 s58, s48, 0xff                                   // 0000000058FC: 863AFF30 000000FF
	v_mov_b32_e32 v29, s58                                     // 000000005904: 7E3A023A
	v_lshrrev_b32_e32 v20, 4, v0                               // 000000005908: 20280084
	v_mul_i32_i24_e32 v20, 4, v20                              // 00000000590C: 0C282884
	s_mov_b32 s58, 32                                          // 000000005910: BEBA00A0
	s_mul_i32 s58, s58, s6                                     // 000000005914: 923A063A
	v_add_u32_e32 v20, s58, v20                                // 000000005918: 6828283A
	v_add_u32_e32 v21, 1, v20                                  // 00000000591C: 682A2881
	v_add_u32_e32 v22, 2, v20                                  // 000000005920: 682C2882
	v_add_u32_e32 v23, 3, v20                                  // 000000005924: 682E2883
	v_mov_b32_e32 v28, 0xff800000                              // 000000005928: 7E3802FF FF800000
	v_cmp_lt_u32_e64 s[36:37], v20, v29                        // 000000005930: D0C90024 00023B14
	v_add_u32_e32 v20, 16, v20                                 // 000000005938: 68282890
	s_nop 0                                                    // 00000000593C: BF800000
	v_cndmask_b32_e64 v38, v28, v38, s[36:37]                  // 000000005940: D1000026 00924D1C
	v_cmp_lt_u32_e64 s[36:37], v21, v29                        // 000000005948: D0C90024 00023B15
	v_add_u32_e32 v21, 16, v21                                 // 000000005950: 682A2A90
	s_nop 0                                                    // 000000005954: BF800000
	v_cndmask_b32_e64 v39, v28, v39, s[36:37]                  // 000000005958: D1000027 00924F1C
	v_cmp_lt_u32_e64 s[36:37], v22, v29                        // 000000005960: D0C90024 00023B16
	v_add_u32_e32 v22, 16, v22                                 // 000000005968: 682C2C90
	s_nop 0                                                    // 00000000596C: BF800000
	v_cndmask_b32_e64 v40, v28, v40, s[36:37]                  // 000000005970: D1000028 0092511C
	v_cmp_lt_u32_e64 s[36:37], v23, v29                        // 000000005978: D0C90024 00023B17
	v_add_u32_e32 v23, 16, v23                                 // 000000005980: 682E2E90
	s_nop 0                                                    // 000000005984: BF800000
	v_cndmask_b32_e64 v41, v28, v41, s[36:37]                  // 000000005988: D1000029 0092531C
	v_cmp_lt_u32_e64 s[36:37], v20, v29                        // 000000005990: D0C90024 00023B14
	v_add_u32_e32 v20, 16, v20                                 // 000000005998: 68282890
	s_nop 0                                                    // 00000000599C: BF800000
	v_cndmask_b32_e64 v42, v28, v42, s[36:37]                  // 0000000059A0: D100002A 0092551C
	v_cmp_lt_u32_e64 s[36:37], v21, v29                        // 0000000059A8: D0C90024 00023B15
	v_add_u32_e32 v21, 16, v21                                 // 0000000059B0: 682A2A90
	s_nop 0                                                    // 0000000059B4: BF800000
	v_cndmask_b32_e64 v43, v28, v43, s[36:37]                  // 0000000059B8: D100002B 0092571C
	v_cmp_lt_u32_e64 s[36:37], v22, v29                        // 0000000059C0: D0C90024 00023B16
	v_add_u32_e32 v22, 16, v22                                 // 0000000059C8: 682C2C90
	s_nop 0                                                    // 0000000059CC: BF800000
	v_cndmask_b32_e64 v44, v28, v44, s[36:37]                  // 0000000059D0: D100002C 0092591C
	v_cmp_lt_u32_e64 s[36:37], v23, v29                        // 0000000059D8: D0C90024 00023B17
	v_add_u32_e32 v23, 16, v23                                 // 0000000059E0: 682E2E90
	s_nop 0                                                    // 0000000059E4: BF800000
	v_cndmask_b32_e64 v45, v28, v45, s[36:37]                  // 0000000059E8: D100002D 00925B1C
	s_nop 2                                                    // 0000000059F0: BF800002
	v_mov_b32_e32 v29, v38                                     // 0000000059F4: 7E3A0326
	v_max3_f32 v29, v38, v39, v29                              // 0000000059F8: D1D3001D 04764F26
	v_max3_f32 v29, v40, v41, v29                              // 000000005A00: D1D3001D 04765328
	v_max3_f32 v29, v42, v43, v29                              // 000000005A08: D1D3001D 0476572A
	v_max3_f32 v29, v44, v45, v29                              // 000000005A10: D1D3001D 04765B2C
	v_mov_b32_e32 v28, v29                                     // 000000005A18: 7E38031D
	v_mov_b32_e32 v29, v29                                     // 000000005A1C: 7E3A031D
	s_nop 1                                                    // 000000005A20: BF800001
	v_permlane16_swap_b32_e32 v28, v29                         // 000000005A24: 7E38B31D
	v_mov_b32_e32 v31, v28                                     // 000000005A28: 7E3E031C
	v_mov_b32_e32 v30, v29                                     // 000000005A2C: 7E3C031D
	s_nop 1                                                    // 000000005A30: BF800001
	v_permlane32_swap_b32_e32 v28, v29                         // 000000005A34: 7E38B51D
	v_permlane32_swap_b32_e32 v30, v31                         // 000000005A38: 7E3CB51F
	v_max3_f32 v29, v28, v29, v29                              // 000000005A3C: D1D3001D 04763B1C
	v_max3_f32 v29, v30, v31, v29                              // 000000005A44: D1D3001D 04763F1E
	ds_write_b32 v36, v29                                      // 000000005A4C: D81A0000 00001D24
	s_waitcnt lgkmcnt(0)                                       // 000000005A54: BF8CC07F
	s_barrier                                                  // 000000005A58: BF8A0000
	ds_read_b32 v46, v37                                       // 000000005A5C: D86C0000 2E000025
	ds_read_b32 v47, v37 offset:256                            // 000000005A64: D86C0100 2F000025
	ds_read_b32 v48, v37 offset:512                            // 000000005A6C: D86C0200 30000025
	ds_read_b32 v49, v37 offset:768                            // 000000005A74: D86C0300 31000025
	s_waitcnt lgkmcnt(0)                                       // 000000005A7C: BF8CC07F
	v_max3_f32 v29, v46, v47, v29                              // 000000005A80: D1D3001D 04765F2E
	v_max3_f32 v29, v48, v49, v29                              // 000000005A88: D1D3001D 04766330
	v_mov_b32_e32 v28, 0xff800000                              // 000000005A90: 7E3802FF FF800000
	v_cmp_eq_u32_e64 s[36:37], v28, v2                         // 000000005A98: D0CA0024 0002051C
	v_max_f32_e32 v29, v29, v2                                 // 000000005AA0: 163A051D
	v_sub_f32_e32 v18, v2, v29                                 // 000000005AA4: 04243B02
	v_cndmask_b32_e64 v18, v18, 0, s[36:37]                    // 000000005AA8: D1000012 00910112
	v_mov_b32_e32 v2, v29                                      // 000000005AB0: 7E04031D
	v_mul_f32_e32 v29, s96, v29                                // 000000005AB4: 0A3A3A60
	v_mul_f32_e32 v18, s96, v18                                // 000000005AB8: 0A242460
	v_exp_f32_e32 v18, v18                                     // 000000005ABC: 7E244112
	v_add_f32_e64 v30, 0, -v29                                 // 000000005AC0: D101001E 40023A80
	v_mov_b32_e32 v31, v30                                     // 000000005AC8: 7E3E031E
	v_pk_fma_f32 v[38:39], v[38:39], s[96:97], v[30:31]        // 000000005ACC: D3B04026 1C78C126
	v_pk_fma_f32 v[40:41], v[40:41], s[96:97], v[30:31]        // 000000005AD4: D3B04028 1C78C128
	v_pk_fma_f32 v[42:43], v[42:43], s[96:97], v[30:31]        // 000000005ADC: D3B0402A 1C78C12A
	v_pk_fma_f32 v[44:45], v[44:45], s[96:97], v[30:31]        // 000000005AE4: D3B0402C 1C78C12C
	v_exp_f32_e32 v38, v38                                     // 000000005AEC: 7E4C4126
	v_exp_f32_e32 v39, v39                                     // 000000005AF0: 7E4E4127
	v_exp_f32_e32 v40, v40                                     // 000000005AF4: 7E504128
	v_exp_f32_e32 v41, v41                                     // 000000005AF8: 7E524129
	v_exp_f32_e32 v42, v42                                     // 000000005AFC: 7E54412A
	v_exp_f32_e32 v43, v43                                     // 000000005B00: 7E56412B
	v_exp_f32_e32 v44, v44                                     // 000000005B04: 7E58412C
	v_exp_f32_e32 v45, v45                                     // 000000005B08: 7E5A412D
	v_mul_f32_e32 v4, v18, v4                                  // 000000005B0C: 0A080912
	v_mov_b32_e32 v28, v38                                     // 000000005B10: 7E380326
	v_add_f32_e32 v28, v39, v28                                // 000000005B14: 02383927
	v_add_f32_e32 v28, v40, v28                                // 000000005B18: 02383928
	v_add_f32_e32 v28, v41, v28                                // 000000005B1C: 02383929
	v_add_f32_e32 v28, v42, v28                                // 000000005B20: 0238392A
	v_add_f32_e32 v28, v43, v28                                // 000000005B24: 0238392B
	v_add_f32_e32 v28, v44, v28                                // 000000005B28: 0238392C
	v_add_f32_e32 v28, v45, v28                                // 000000005B2C: 0238392D
	v_add_f32_e32 v4, v28, v4                                  // 000000005B30: 0208091C
	v_cvt_pk_fp8_f32 v38, v38, v39                             // 000000005B34: D2A20026 00024F26
	v_cvt_pk_fp8_f32 v38, v40, v41 op_sel:[0,0,1]              // 000000005B3C: D2A24026 00025328
	v_cvt_pk_fp8_f32 v39, v42, v43                             // 000000005B44: D2A20027 0002572A
	v_cvt_pk_fp8_f32 v39, v44, v45 op_sel:[0,0,1]              // 000000005B4C: D2A24027 00025B2C
	s_nop 0                                                    // 000000005B54: BF800000
	v_permlane16_swap_b32_e32 v38, v39                         // 000000005B58: 7E4CB327
	ds_write_b64 v34, v[38:39]                                 // 000000005B5C: D89A0000 00002622
	s_waitcnt lgkmcnt(0)                                       // 000000005B64: BF8CC07F
	s_barrier                                                  // 000000005B68: BF8A0000
	ds_read_b64 v[38:39], v35                                  // 000000005B6C: D8EC0000 26000023
	ds_read_b64 v[40:41], v35 offset:256                       // 000000005B74: D8EC0100 28000023
	ds_read_b64 v[42:43], v35 offset:1024                      // 000000005B7C: D8EC0400 2A000023
	ds_read_b64 v[44:45], v35 offset:1280                      // 000000005B84: D8EC0500 2C000023
	v_mul_f32_e32 v70, v18, v70                                // 000000005B8C: 0A8C8D12
	v_mul_f32_e32 v71, v18, v71                                // 000000005B90: 0A8E8F12
	v_mul_f32_e32 v72, v18, v72                                // 000000005B94: 0A909112
	v_mul_f32_e32 v73, v18, v73                                // 000000005B98: 0A929312
	v_mul_f32_e32 v74, v18, v74                                // 000000005B9C: 0A949512
	v_mul_f32_e32 v75, v18, v75                                // 000000005BA0: 0A969712
	v_mul_f32_e32 v76, v18, v76                                // 000000005BA4: 0A989912
	v_mul_f32_e32 v77, v18, v77                                // 000000005BA8: 0A9A9B12
	v_mul_f32_e32 v78, v18, v78                                // 000000005BAC: 0A9C9D12
	v_mul_f32_e32 v79, v18, v79                                // 000000005BB0: 0A9E9F12
	v_mul_f32_e32 v80, v18, v80                                // 000000005BB4: 0AA0A112
	v_mul_f32_e32 v81, v18, v81                                // 000000005BB8: 0AA2A312
	v_mul_f32_e32 v82, v18, v82                                // 000000005BBC: 0AA4A512
	v_mul_f32_e32 v83, v18, v83                                // 000000005BC0: 0AA6A712
	v_mul_f32_e32 v84, v18, v84                                // 000000005BC4: 0AA8A912
	v_mul_f32_e32 v85, v18, v85                                // 000000005BC8: 0AAAAB12
	v_mul_f32_e32 v86, v18, v86                                // 000000005BCC: 0AACAD12
	v_mul_f32_e32 v87, v18, v87                                // 000000005BD0: 0AAEAF12
	v_mul_f32_e32 v88, v18, v88                                // 000000005BD4: 0AB0B112
	v_mul_f32_e32 v89, v18, v89                                // 000000005BD8: 0AB2B312
	v_mul_f32_e32 v90, v18, v90                                // 000000005BDC: 0AB4B512
	v_mul_f32_e32 v91, v18, v91                                // 000000005BE0: 0AB6B712
	v_mul_f32_e32 v92, v18, v92                                // 000000005BE4: 0AB8B912
	v_mul_f32_e32 v93, v18, v93                                // 000000005BE8: 0ABABB12
	v_mul_f32_e32 v94, v18, v94                                // 000000005BEC: 0ABCBD12
	v_mul_f32_e32 v95, v18, v95                                // 000000005BF0: 0ABEBF12
	v_mul_f32_e32 v96, v18, v96                                // 000000005BF4: 0AC0C112
	v_mul_f32_e32 v97, v18, v97                                // 000000005BF8: 0AC2C312
	v_mul_f32_e32 v98, v18, v98                                // 000000005BFC: 0AC4C512
	v_mul_f32_e32 v99, v18, v99                                // 000000005C00: 0AC6C712
	v_mul_f32_e32 v100, v18, v100                              // 000000005C04: 0AC8C912
	v_mul_f32_e32 v101, v18, v101                              // 000000005C08: 0ACACB12
	s_waitcnt lgkmcnt(0)                                       // 000000005C0C: BF8CC07F
	v_mfma_f32_16x16x128_f8f6f4 v[70:73], a[120:127], v[38:45], v[70:73]// 000000005C10: D3AD0046 0D1A4D78
	v_mfma_f32_16x16x128_f8f6f4 v[74:77], a[128:135], v[38:45], v[74:77]// 000000005C18: D3AD004A 0D2A4D80
	v_mfma_f32_16x16x128_f8f6f4 v[78:81], a[136:143], v[38:45], v[78:81]// 000000005C20: D3AD004E 0D3A4D88
	v_mfma_f32_16x16x128_f8f6f4 v[82:85], a[144:151], v[38:45], v[82:85]// 000000005C28: D3AD0052 0D4A4D90
	v_mfma_f32_16x16x128_f8f6f4 v[86:89], a[152:159], v[38:45], v[86:89]// 000000005C30: D3AD0056 0D5A4D98
	v_mfma_f32_16x16x128_f8f6f4 v[90:93], a[160:167], v[38:45], v[90:93]// 000000005C38: D3AD005A 0D6A4DA0
	v_mfma_f32_16x16x128_f8f6f4 v[94:97], a[168:175], v[38:45], v[94:97]// 000000005C40: D3AD005E 0D7A4DA8
	v_mfma_f32_16x16x128_f8f6f4 v[98:101], a[176:183], v[38:45], v[98:101]// 000000005C48: D3AD0062 0D8A4DB0
	s_branch label_3DD8                                        // 000000005C50: BF8200FF

0000000000005c54 <label_3954>:
	s_waitcnt lgkmcnt(0)                                       // 000000005C54: BF8CC07F
	v_mfma_f32_16x16x128_f8f6f4 v[38:41], a[40:47], a[0:7], 0  // 000000005C58: D3AD0026 1A020128
	ds_read_b128 a[80:83], v20 offset:9216                     // 000000005C60: DBFE2400 50000014
	v_mfma_f32_16x16x128_f8f6f4 v[38:41], a[48:55], a[8:15], v[38:41]// 000000005C68: D3AD0026 1C9A1130
	ds_read_b128 a[84:87], v20 offset:10240                    // 000000005C70: DBFE2800 54000014
	v_mfma_f32_16x16x128_f8f6f4 v[38:41], a[56:63], a[16:23], v[38:41]// 000000005C78: D3AD0026 1C9A2138
	ds_read_b128 a[88:91], v20 offset:11264                    // 000000005C80: DBFE2C00 58000014
	v_mfma_f32_16x16x128_f8f6f4 v[38:41], a[64:71], a[24:31], v[38:41]// 000000005C88: D3AD0026 1C9A3140
	ds_read_b128 a[92:95], v20 offset:12288                    // 000000005C90: DBFE3000 5C000014
	v_mfma_f32_16x16x128_f8f6f4 v[38:41], a[72:79], a[32:39], v[38:41]// 000000005C98: D3AD0026 1C9A4148
	ds_read_b128 a[96:99], v20 offset:13312                    // 000000005CA0: DBFE3400 60000014
	ds_read_b128 a[100:103], v20 offset:14336                  // 000000005CA8: DBFE3800 64000014
	ds_read_b128 a[104:107], v20 offset:15360                  // 000000005CB0: DBFE3C00 68000014
	ds_read_b128 a[108:111], v20 offset:16384                  // 000000005CB8: DBFE4000 6C000014
	ds_read_b128 a[112:115], v20 offset:17408                  // 000000005CC0: DBFE4400 70000014
	s_waitcnt lgkmcnt(0)                                       // 000000005CC8: BF8CC07F
	v_mfma_f32_16x16x128_f8f6f4 v[42:45], a[80:87], a[0:7], 0  // 000000005CCC: D3AD002A 1A020150
	v_mfma_f32_16x16x128_f8f6f4 v[42:45], a[88:95], a[8:15], v[42:45]// 000000005CD4: D3AD002A 1CAA1158
	v_mfma_f32_16x16x128_f8f6f4 v[42:45], a[96:103], a[16:23], v[42:45]// 000000005CDC: D3AD002A 1CAA2160
	v_mfma_f32_16x16x128_f8f6f4 v[42:45], a[104:111], a[24:31], v[42:45]// 000000005CE4: D3AD002A 1CAA3168
	v_mfma_f32_16x16x128_f8f6f4 v[42:45], a[112:119], a[32:39], v[42:45]// 000000005CEC: D3AD002A 1CAA4170
	s_nop 8                                                    // 000000005CF4: BF800008
	s_and_b32 s58, s48, 0xff                                   // 000000005CF8: 863AFF30 000000FF
	v_mov_b32_e32 v29, s58                                     // 000000005D00: 7E3A023A
	v_lshrrev_b32_e32 v20, 4, v0                               // 000000005D04: 20280084
	v_mul_i32_i24_e32 v20, 4, v20                              // 000000005D08: 0C282884
	s_mov_b32 s58, 32                                          // 000000005D0C: BEBA00A0
	s_mul_i32 s58, s58, s6                                     // 000000005D10: 923A063A
	v_add_u32_e32 v20, s58, v20                                // 000000005D14: 6828283A
	v_add_u32_e32 v21, 1, v20                                  // 000000005D18: 682A2881
	v_add_u32_e32 v22, 2, v20                                  // 000000005D1C: 682C2882
	v_add_u32_e32 v23, 3, v20                                  // 000000005D20: 682E2883
	v_mov_b32_e32 v28, 0xff800000                              // 000000005D24: 7E3802FF FF800000
	v_cmp_lt_u32_e64 s[36:37], v20, v29                        // 000000005D2C: D0C90024 00023B14
	v_add_u32_e32 v20, 16, v20                                 // 000000005D34: 68282890
	s_nop 0                                                    // 000000005D38: BF800000
	v_cndmask_b32_e64 v38, v28, v38, s[36:37]                  // 000000005D3C: D1000026 00924D1C
	v_cmp_lt_u32_e64 s[36:37], v21, v29                        // 000000005D44: D0C90024 00023B15
	v_add_u32_e32 v21, 16, v21                                 // 000000005D4C: 682A2A90
	s_nop 0                                                    // 000000005D50: BF800000
	v_cndmask_b32_e64 v39, v28, v39, s[36:37]                  // 000000005D54: D1000027 00924F1C
	v_cmp_lt_u32_e64 s[36:37], v22, v29                        // 000000005D5C: D0C90024 00023B16
	v_add_u32_e32 v22, 16, v22                                 // 000000005D64: 682C2C90
	s_nop 0                                                    // 000000005D68: BF800000
	v_cndmask_b32_e64 v40, v28, v40, s[36:37]                  // 000000005D6C: D1000028 0092511C
	v_cmp_lt_u32_e64 s[36:37], v23, v29                        // 000000005D74: D0C90024 00023B17
	v_add_u32_e32 v23, 16, v23                                 // 000000005D7C: 682E2E90
	s_nop 0                                                    // 000000005D80: BF800000
	v_cndmask_b32_e64 v41, v28, v41, s[36:37]                  // 000000005D84: D1000029 0092531C
	v_cmp_lt_u32_e64 s[36:37], v20, v29                        // 000000005D8C: D0C90024 00023B14
	v_add_u32_e32 v20, 16, v20                                 // 000000005D94: 68282890
	s_nop 0                                                    // 000000005D98: BF800000
	v_cndmask_b32_e64 v42, v28, v42, s[36:37]                  // 000000005D9C: D100002A 0092551C
	v_cmp_lt_u32_e64 s[36:37], v21, v29                        // 000000005DA4: D0C90024 00023B15
	v_add_u32_e32 v21, 16, v21                                 // 000000005DAC: 682A2A90
	s_nop 0                                                    // 000000005DB0: BF800000
	v_cndmask_b32_e64 v43, v28, v43, s[36:37]                  // 000000005DB4: D100002B 0092571C
	v_cmp_lt_u32_e64 s[36:37], v22, v29                        // 000000005DBC: D0C90024 00023B16
	v_add_u32_e32 v22, 16, v22                                 // 000000005DC4: 682C2C90
	s_nop 0                                                    // 000000005DC8: BF800000
	v_cndmask_b32_e64 v44, v28, v44, s[36:37]                  // 000000005DCC: D100002C 0092591C
	v_cmp_lt_u32_e64 s[36:37], v23, v29                        // 000000005DD4: D0C90024 00023B17
	v_add_u32_e32 v23, 16, v23                                 // 000000005DDC: 682E2E90
	s_nop 0                                                    // 000000005DE0: BF800000
	v_cndmask_b32_e64 v45, v28, v45, s[36:37]                  // 000000005DE4: D100002D 00925B1C
	s_nop 2                                                    // 000000005DEC: BF800002
	v_mov_b32_e32 v29, v38                                     // 000000005DF0: 7E3A0326
	v_max3_f32 v29, v38, v39, v29                              // 000000005DF4: D1D3001D 04764F26
	v_max3_f32 v29, v40, v41, v29                              // 000000005DFC: D1D3001D 04765328
	v_max3_f32 v29, v42, v43, v29                              // 000000005E04: D1D3001D 0476572A
	v_max3_f32 v29, v44, v45, v29                              // 000000005E0C: D1D3001D 04765B2C
	v_mov_b32_e32 v28, v29                                     // 000000005E14: 7E38031D
	v_mov_b32_e32 v29, v29                                     // 000000005E18: 7E3A031D
	s_nop 1                                                    // 000000005E1C: BF800001
	v_permlane16_swap_b32_e32 v28, v29                         // 000000005E20: 7E38B31D
	v_mov_b32_e32 v31, v28                                     // 000000005E24: 7E3E031C
	v_mov_b32_e32 v30, v29                                     // 000000005E28: 7E3C031D
	s_nop 1                                                    // 000000005E2C: BF800001
	v_permlane32_swap_b32_e32 v28, v29                         // 000000005E30: 7E38B51D
	v_permlane32_swap_b32_e32 v30, v31                         // 000000005E34: 7E3CB51F
	v_max3_f32 v29, v28, v29, v29                              // 000000005E38: D1D3001D 04763B1C
	v_max3_f32 v29, v30, v31, v29                              // 000000005E40: D1D3001D 04763F1E
	ds_write_b32 v36, v29                                      // 000000005E48: D81A0000 00001D24
	s_waitcnt lgkmcnt(0)                                       // 000000005E50: BF8CC07F
	s_barrier                                                  // 000000005E54: BF8A0000
	ds_read_b32 v46, v37                                       // 000000005E58: D86C0000 2E000025
	ds_read_b32 v47, v37 offset:256                            // 000000005E60: D86C0100 2F000025
	ds_read_b32 v48, v37 offset:512                            // 000000005E68: D86C0200 30000025
	ds_read_b32 v49, v37 offset:768                            // 000000005E70: D86C0300 31000025
	s_waitcnt lgkmcnt(0)                                       // 000000005E78: BF8CC07F
	v_max3_f32 v29, v46, v47, v29                              // 000000005E7C: D1D3001D 04765F2E
	v_max3_f32 v29, v48, v49, v29                              // 000000005E84: D1D3001D 04766330
	v_mov_b32_e32 v28, 0xff800000                              // 000000005E8C: 7E3802FF FF800000
	v_cmp_eq_u32_e64 s[36:37], v28, v2                         // 000000005E94: D0CA0024 0002051C
	v_max_f32_e32 v29, v29, v2                                 // 000000005E9C: 163A051D
	v_sub_f32_e32 v18, v2, v29                                 // 000000005EA0: 04243B02
	v_cndmask_b32_e64 v18, v18, 0, s[36:37]                    // 000000005EA4: D1000012 00910112
	v_mov_b32_e32 v2, v29                                      // 000000005EAC: 7E04031D
	v_mul_f32_e32 v29, s96, v29                                // 000000005EB0: 0A3A3A60
	v_mul_f32_e32 v18, s96, v18                                // 000000005EB4: 0A242460
	v_exp_f32_e32 v18, v18                                     // 000000005EB8: 7E244112
	v_add_f32_e64 v30, 0, -v29                                 // 000000005EBC: D101001E 40023A80
	v_mov_b32_e32 v31, v30                                     // 000000005EC4: 7E3E031E
	v_pk_fma_f32 v[38:39], v[38:39], s[96:97], v[30:31]        // 000000005EC8: D3B04026 1C78C126
	v_pk_fma_f32 v[40:41], v[40:41], s[96:97], v[30:31]        // 000000005ED0: D3B04028 1C78C128
	v_pk_fma_f32 v[42:43], v[42:43], s[96:97], v[30:31]        // 000000005ED8: D3B0402A 1C78C12A
	v_pk_fma_f32 v[44:45], v[44:45], s[96:97], v[30:31]        // 000000005EE0: D3B0402C 1C78C12C
	v_exp_f32_e32 v38, v38                                     // 000000005EE8: 7E4C4126
	v_exp_f32_e32 v39, v39                                     // 000000005EEC: 7E4E4127
	v_exp_f32_e32 v40, v40                                     // 000000005EF0: 7E504128
	v_exp_f32_e32 v41, v41                                     // 000000005EF4: 7E524129
	v_exp_f32_e32 v42, v42                                     // 000000005EF8: 7E54412A
	v_exp_f32_e32 v43, v43                                     // 000000005EFC: 7E56412B
	v_exp_f32_e32 v44, v44                                     // 000000005F00: 7E58412C
	v_exp_f32_e32 v45, v45                                     // 000000005F04: 7E5A412D
	v_mul_f32_e32 v4, v18, v4                                  // 000000005F08: 0A080912
	v_mov_b32_e32 v28, v38                                     // 000000005F0C: 7E380326
	v_add_f32_e32 v28, v39, v28                                // 000000005F10: 02383927
	v_add_f32_e32 v28, v40, v28                                // 000000005F14: 02383928
	v_add_f32_e32 v28, v41, v28                                // 000000005F18: 02383929
	v_add_f32_e32 v28, v42, v28                                // 000000005F1C: 0238392A
	v_add_f32_e32 v28, v43, v28                                // 000000005F20: 0238392B
	v_add_f32_e32 v28, v44, v28                                // 000000005F24: 0238392C
	v_add_f32_e32 v28, v45, v28                                // 000000005F28: 0238392D
	v_add_f32_e32 v4, v28, v4                                  // 000000005F2C: 0208091C
	v_cvt_pk_fp8_f32 v38, v38, v39                             // 000000005F30: D2A20026 00024F26
	v_cvt_pk_fp8_f32 v38, v40, v41 op_sel:[0,0,1]              // 000000005F38: D2A24026 00025328
	v_cvt_pk_fp8_f32 v39, v42, v43                             // 000000005F40: D2A20027 0002572A
	v_cvt_pk_fp8_f32 v39, v44, v45 op_sel:[0,0,1]              // 000000005F48: D2A24027 00025B2C
	s_nop 0                                                    // 000000005F50: BF800000
	v_permlane16_swap_b32_e32 v38, v39                         // 000000005F54: 7E4CB327
	ds_write_b64 v34, v[38:39]                                 // 000000005F58: D89A0000 00002622
	s_waitcnt lgkmcnt(0)                                       // 000000005F60: BF8CC07F
	s_barrier                                                  // 000000005F64: BF8A0000
	ds_read_b64 v[38:39], v35                                  // 000000005F68: D8EC0000 26000023
	ds_read_b64 v[40:41], v35 offset:256                       // 000000005F70: D8EC0100 28000023
	ds_read_b64 v[42:43], v35 offset:1024                      // 000000005F78: D8EC0400 2A000023
	ds_read_b64 v[44:45], v35 offset:1280                      // 000000005F80: D8EC0500 2C000023
	v_mul_f32_e32 v70, v18, v70                                // 000000005F88: 0A8C8D12
	v_mul_f32_e32 v71, v18, v71                                // 000000005F8C: 0A8E8F12
	v_mul_f32_e32 v72, v18, v72                                // 000000005F90: 0A909112
	v_mul_f32_e32 v73, v18, v73                                // 000000005F94: 0A929312
	v_mul_f32_e32 v74, v18, v74                                // 000000005F98: 0A949512
	v_mul_f32_e32 v75, v18, v75                                // 000000005F9C: 0A969712
	v_mul_f32_e32 v76, v18, v76                                // 000000005FA0: 0A989912
	v_mul_f32_e32 v77, v18, v77                                // 000000005FA4: 0A9A9B12
	v_mul_f32_e32 v78, v18, v78                                // 000000005FA8: 0A9C9D12
	v_mul_f32_e32 v79, v18, v79                                // 000000005FAC: 0A9E9F12
	v_mul_f32_e32 v80, v18, v80                                // 000000005FB0: 0AA0A112
	v_mul_f32_e32 v81, v18, v81                                // 000000005FB4: 0AA2A312
	v_mul_f32_e32 v82, v18, v82                                // 000000005FB8: 0AA4A512
	v_mul_f32_e32 v83, v18, v83                                // 000000005FBC: 0AA6A712
	v_mul_f32_e32 v84, v18, v84                                // 000000005FC0: 0AA8A912
	v_mul_f32_e32 v85, v18, v85                                // 000000005FC4: 0AAAAB12
	v_mul_f32_e32 v86, v18, v86                                // 000000005FC8: 0AACAD12
	v_mul_f32_e32 v87, v18, v87                                // 000000005FCC: 0AAEAF12
	v_mul_f32_e32 v88, v18, v88                                // 000000005FD0: 0AB0B112
	v_mul_f32_e32 v89, v18, v89                                // 000000005FD4: 0AB2B312
	v_mul_f32_e32 v90, v18, v90                                // 000000005FD8: 0AB4B512
	v_mul_f32_e32 v91, v18, v91                                // 000000005FDC: 0AB6B712
	v_mul_f32_e32 v92, v18, v92                                // 000000005FE0: 0AB8B912
	v_mul_f32_e32 v93, v18, v93                                // 000000005FE4: 0ABABB12
	v_mul_f32_e32 v94, v18, v94                                // 000000005FE8: 0ABCBD12
	v_mul_f32_e32 v95, v18, v95                                // 000000005FEC: 0ABEBF12
	v_mul_f32_e32 v96, v18, v96                                // 000000005FF0: 0AC0C112
	v_mul_f32_e32 v97, v18, v97                                // 000000005FF4: 0AC2C312
	v_mul_f32_e32 v98, v18, v98                                // 000000005FF8: 0AC4C512
	v_mul_f32_e32 v99, v18, v99                                // 000000005FFC: 0AC6C712
	v_mul_f32_e32 v100, v18, v100                              // 000000006000: 0AC8C912
	v_mul_f32_e32 v101, v18, v101                              // 000000006004: 0ACACB12
	s_waitcnt lgkmcnt(0)                                       // 000000006008: BF8CC07F
	v_mfma_f32_16x16x128_f8f6f4 v[70:73], a[120:127], v[38:45], v[70:73]// 00000000600C: D3AD0046 0D1A4D78
	v_mfma_f32_16x16x128_f8f6f4 v[74:77], a[128:135], v[38:45], v[74:77]// 000000006014: D3AD004A 0D2A4D80
	v_mfma_f32_16x16x128_f8f6f4 v[78:81], a[136:143], v[38:45], v[78:81]// 00000000601C: D3AD004E 0D3A4D88
	v_mfma_f32_16x16x128_f8f6f4 v[82:85], a[144:151], v[38:45], v[82:85]// 000000006024: D3AD0052 0D4A4D90
	v_mfma_f32_16x16x128_f8f6f4 v[86:89], a[152:159], v[38:45], v[86:89]// 00000000602C: D3AD0056 0D5A4D98
	v_mfma_f32_16x16x128_f8f6f4 v[90:93], a[160:167], v[38:45], v[90:93]// 000000006034: D3AD005A 0D6A4DA0
	v_mfma_f32_16x16x128_f8f6f4 v[94:97], a[168:175], v[38:45], v[94:97]// 00000000603C: D3AD005E 0D7A4DA8
	v_mfma_f32_16x16x128_f8f6f4 v[98:101], a[176:183], v[38:45], v[98:101]// 000000006044: D3AD0062 0D8A4DB0
	s_branch label_3DD8                                        // 00000000604C: BF820000

0000000000006050 <label_3DD8>:
	v_mov_b32_e32 v28, v4                                      // 000000006050: 7E380304
	v_mov_b32_e32 v29, v4                                      // 000000006054: 7E3A0304
	s_nop 1                                                    // 000000006058: BF800001
	v_permlane16_swap_b32_e32 v28, v29                         // 00000000605C: 7E38B31D
	v_mov_b32_e32 v31, v28                                     // 000000006060: 7E3E031C
	v_mov_b32_e32 v30, v29                                     // 000000006064: 7E3C031D
	s_nop 1                                                    // 000000006068: BF800001
	v_permlane32_swap_b32_e32 v28, v29                         // 00000000606C: 7E38B51D
	v_permlane32_swap_b32_e32 v30, v31                         // 000000006070: 7E3CB51F
	v_mov_b32_e32 v4, 0                                        // 000000006074: 7E080280
	v_add_f32_e32 v4, v28, v4                                  // 000000006078: 0208091C
	v_add_f32_e32 v4, v29, v4                                  // 00000000607C: 0208091D
	v_add_f32_e32 v4, v30, v4                                  // 000000006080: 0208091E
	v_add_f32_e32 v4, v31, v4                                  // 000000006084: 0208091F
	ds_write_b32 v36, v4                                       // 000000006088: D81A0000 00000424
	s_waitcnt lgkmcnt(0)                                       // 000000006090: BF8CC07F
	s_barrier                                                  // 000000006094: BF8A0000
	ds_read_b32 v46, v37                                       // 000000006098: D86C0000 2E000025
	ds_read_b32 v47, v37 offset:256                            // 0000000060A0: D86C0100 2F000025
	ds_read_b32 v48, v37 offset:512                            // 0000000060A8: D86C0200 30000025
	ds_read_b32 v49, v37 offset:768                            // 0000000060B0: D86C0300 31000025
	v_mov_b32_e32 v29, 0                                       // 0000000060B8: 7E3A0280
	s_waitcnt lgkmcnt(0)                                       // 0000000060BC: BF8CC07F
	v_add_f32_e32 v29, v46, v29                                // 0000000060C0: 023A3B2E
	v_add_f32_e32 v29, v47, v29                                // 0000000060C4: 023A3B2F
	v_add_f32_e32 v29, v48, v29                                // 0000000060C8: 023A3B30
	v_add_f32_e32 v29, v49, v29                                // 0000000060CC: 023A3B31
	v_mov_b32_e32 v4, v29                                      // 0000000060D0: 7E08031D
	v_mov_b32_e32 v28, 0                                       // 0000000060D4: 7E380280
	v_cmp_eq_u32_e64 s[36:37], v28, v4                         // 0000000060D8: D0CA0024 0002091C
	v_mul_f32_e64 v28, v2, s64                                 // 0000000060E0: D105001C 00008102
	v_log_f32_e32 v29, v4                                      // 0000000060E8: 7E3A4304
	s_nop 1                                                    // 0000000060EC: BF800001
	v_rcp_f32_e32 v4, v4                                       // 0000000060F0: 7E084504
	s_nop 1                                                    // 0000000060F4: BF800001
	v_fma_f32 v1, v29, s63, v28                                // 0000000060F8: D1CB0001 04707F1D
	v_mul_f32_e32 v4, s61, v4                                  // 000000006100: 0A08083D
	v_mul_f32_e32 v70, v4, v70                                 // 000000006104: 0A8C8D04
	v_mul_f32_e32 v71, v4, v71                                 // 000000006108: 0A8E8F04
	v_mul_f32_e32 v72, v4, v72                                 // 00000000610C: 0A909104
	v_mul_f32_e32 v73, v4, v73                                 // 000000006110: 0A929304
	v_mul_f32_e32 v74, v4, v74                                 // 000000006114: 0A949504
	v_mul_f32_e32 v75, v4, v75                                 // 000000006118: 0A969704
	v_mul_f32_e32 v76, v4, v76                                 // 00000000611C: 0A989904
	v_mul_f32_e32 v77, v4, v77                                 // 000000006120: 0A9A9B04
	v_mul_f32_e32 v78, v4, v78                                 // 000000006124: 0A9C9D04
	v_mul_f32_e32 v79, v4, v79                                 // 000000006128: 0A9E9F04
	v_mul_f32_e32 v80, v4, v80                                 // 00000000612C: 0AA0A104
	v_mul_f32_e32 v81, v4, v81                                 // 000000006130: 0AA2A304
	v_mul_f32_e32 v82, v4, v82                                 // 000000006134: 0AA4A504
	v_mul_f32_e32 v83, v4, v83                                 // 000000006138: 0AA6A704
	v_mul_f32_e32 v84, v4, v84                                 // 00000000613C: 0AA8A904
	v_mul_f32_e32 v85, v4, v85                                 // 000000006140: 0AAAAB04
	v_mul_f32_e32 v86, v4, v86                                 // 000000006144: 0AACAD04
	v_mul_f32_e32 v87, v4, v87                                 // 000000006148: 0AAEAF04
	v_mul_f32_e32 v88, v4, v88                                 // 00000000614C: 0AB0B104
	v_mul_f32_e32 v89, v4, v89                                 // 000000006150: 0AB2B304
	v_mul_f32_e32 v90, v4, v90                                 // 000000006154: 0AB4B504
	v_mul_f32_e32 v91, v4, v91                                 // 000000006158: 0AB6B704
	v_mul_f32_e32 v92, v4, v92                                 // 00000000615C: 0AB8B904
	v_mul_f32_e32 v93, v4, v93                                 // 000000006160: 0ABABB04
	v_mul_f32_e32 v94, v4, v94                                 // 000000006164: 0ABCBD04
	v_mul_f32_e32 v95, v4, v95                                 // 000000006168: 0ABEBF04
	v_mul_f32_e32 v96, v4, v96                                 // 00000000616C: 0AC0C104
	v_mul_f32_e32 v97, v4, v97                                 // 000000006170: 0AC2C304
	v_mul_f32_e32 v98, v4, v98                                 // 000000006174: 0AC4C504
	v_mul_f32_e32 v99, v4, v99                                 // 000000006178: 0AC6C704
	v_mul_f32_e32 v100, v4, v100                               // 00000000617C: 0AC8C904
	v_mul_f32_e32 v101, v4, v101                               // 000000006180: 0ACACB04
	s_cmp_eq_u32 s67, 1                                        // 000000006184: BF068143
	s_cbranch_scc1 label_41D8                                  // 000000006188: BF8500B1
	s_cmp_eq_u32 s62, 1                                        // 00000000618C: BF06813E
	s_cselect_b32 s58, s67, 0                                  // 000000006190: 853A8043
	s_cmp_eq_u32 s58, 1                                        // 000000006194: BF06813A
	s_cbranch_scc1 label_41D8                                  // 000000006198: BF8500AD
	s_mul_i32 s75, 0x800, 16                                   // 00000000619C: 924B90FF 00000800
	s_mul_i32 s94, s67, s75                                    // 0000000061A4: 925E4B43
	s_mul_i32 s93, s92, s75                                    // 0000000061A8: 925D4B5C
	s_mul_i32 s58, s79, s93                                    // 0000000061AC: 923A5D4F
	s_mul_i32 s59, s79, s75                                    // 0000000061B0: 923B4B4F
	s_cmp_eq_u32 s67, 1                                        // 0000000061B4: BF068143
	s_cselect_b32 s58, s59, s58                                // 0000000061B8: 853A3A3B
	s_add_u32 s8, s58, s8                                      // 0000000061BC: 8008083A
	s_addc_u32 s9, 0, s9                                       // 0000000061C0: 82090980
	s_mul_i32 s58, s93, s81                                    // 0000000061C4: 923A515D
	s_mov_b32 s10, s58                                         // 0000000061C8: BE8A003A
	s_mul_i32 s58, s93, s6                                     // 0000000061CC: 923A065D
	v_lshrrev_b32_e32 v28, 5, v0                               // 0000000061D0: 20380085
	s_mov_b32 s59, 0x800                                       // 0000000061D4: BEBB00FF 00000800
	v_mul_i32_i24_e32 v28, s59, v28                            // 0000000061DC: 0C38383B
	v_and_b32_e32 v5, 31, v0                                   // 0000000061E0: 260A009F
	v_lshlrev_b32_e32 v5, 4, v5                                // 0000000061E4: 240A0A84
	v_add_u32_e32 v5, v5, v28                                  // 0000000061E8: 680A3905
	v_add_u32_e64 v5, v5, s58                                  // 0000000061EC: D1340005 00007505
	s_mul_i32 s58, s4, s75                                     // 0000000061F4: 923A4B04
	s_add_u32 s8, s58, s8                                      // 0000000061F8: 8008083A
	s_addc_u32 s9, 0, s9                                       // 0000000061FC: 82090980
	s_mul_i32 s58, 4, 16                                       // 000000006200: 923A9084
	s_mul_i32 s77, s67, s58                                    // 000000006204: 924D3A43
	s_mul_i32 s59, s92, s58                                    // 000000006208: 923B3A5C
	s_mul_i32 s58, s79, s59                                    // 00000000620C: 923A3B4F
	s_add_u32 s12, s58, s12                                    // 000000006210: 800C0C3A
	s_addc_u32 s13, 0, s13                                     // 000000006214: 820D0D80
	s_mul_i32 s58, s81, s59                                    // 000000006218: 923A3B51
	s_mov_b32 s14, s58                                         // 00000000621C: BE8E003A
	v_and_b32_e32 v4, 15, v0                                   // 000000006220: 2608008F
	v_lshlrev_b32_e32 v4, 2, v4                                // 000000006224: 24080882
	s_mul_i32 s58, 4, 16                                       // 000000006228: 923A9084
	s_mul_i32 s58, s4, s58                                     // 00000000622C: 923A3A04
	v_add_u32_e64 v4, v4, s58                                  // 000000006230: D1340004 00007504
	v_lshlrev_b32_e32 v2, 4, v0                                // 000000006238: 24040084
	s_mov_b32 s58, 0x2400                                      // 00000000623C: BEBA00FF 00002400
	s_mul_i32 s58, s6, s58                                     // 000000006244: 923A3A06
	v_add_u32_e32 v2, s58, v2                                  // 000000006248: 6804043A
	ds_write_b128 v2, v[70:73]                                 // 00000000624C: D9BE0000 00004602
	s_mov_b32 s58, 0x410                                       // 000000006254: BEBA00FF 00000410
	v_add_u32_e32 v2, s58, v2                                  // 00000000625C: 6804043A
	ds_write_b128 v2, v[74:77]                                 // 000000006260: D9BE0000 00004A02
	s_mov_b32 s58, 0x410                                       // 000000006268: BEBA00FF 00000410
	v_add_u32_e32 v2, s58, v2                                  // 000000006270: 6804043A
	ds_write_b128 v2, v[78:81]                                 // 000000006274: D9BE0000 00004E02
	s_mov_b32 s58, 0x410                                       // 00000000627C: BEBA00FF 00000410
	v_add_u32_e32 v2, s58, v2                                  // 000000006284: 6804043A
	ds_write_b128 v2, v[82:85]                                 // 000000006288: D9BE0000 00005202
	s_mov_b32 s58, 0x410                                       // 000000006290: BEBA00FF 00000410
	v_add_u32_e32 v2, s58, v2                                  // 000000006298: 6804043A
	ds_write_b128 v2, v[86:89]                                 // 00000000629C: D9BE0000 00005602
	s_mov_b32 s58, 0x410                                       // 0000000062A4: BEBA00FF 00000410
	v_add_u32_e32 v2, s58, v2                                  // 0000000062AC: 6804043A
	ds_write_b128 v2, v[90:93]                                 // 0000000062B0: D9BE0000 00005A02
	s_mov_b32 s58, 0x410                                       // 0000000062B8: BEBA00FF 00000410
	v_add_u32_e32 v2, s58, v2                                  // 0000000062C0: 6804043A
	ds_write_b128 v2, v[94:97]                                 // 0000000062C4: D9BE0000 00005E02
	s_mov_b32 s58, 0x410                                       // 0000000062CC: BEBA00FF 00000410
	v_add_u32_e32 v2, s58, v2                                  // 0000000062D4: 6804043A
	ds_write_b128 v2, v[98:101]                                // 0000000062D8: D9BE0000 00006202
	s_mov_b32 s58, 0x410                                       // 0000000062E0: BEBA00FF 00000410
	v_add_u32_e32 v2, s58, v2                                  // 0000000062E8: 6804043A
	v_and_b32_e32 v28, 3, v0                                   // 0000000062EC: 26380083
	s_mov_b32 s58, 0x100                                       // 0000000062F0: BEBA00FF 00000100
	v_mul_i32_i24_e32 v28, s58, v28                            // 0000000062F8: 0C38383A
	v_and_b32_e32 v29, 31, v0                                  // 0000000062FC: 263A009F
	v_lshrrev_b32_e32 v29, 2, v29                              // 000000006300: 203A3A82
	s_mov_b32 s58, 0x410                                       // 000000006304: BEBA00FF 00000410
	v_mul_i32_i24_e32 v29, s58, v29                            // 00000000630C: 0C3A3A3A
	v_lshrrev_b32_e32 v30, 5, v0                               // 000000006310: 203C0085
	s_mov_b32 s58, 16                                          // 000000006314: BEBA0090
	v_mul_i32_i24_e32 v30, s58, v30                            // 000000006318: 0C3C3C3A
	v_add_u32_e32 v2, v28, v29                                 // 00000000631C: 68043B1C
	v_add_u32_e32 v2, v30, v2                                  // 000000006320: 6804051E
	s_mov_b32 s59, 0x2400                                      // 000000006324: BEBB00FF 00002400
	s_mul_i32 s58, s59, s6                                     // 00000000632C: 923A063B
	v_add_u32_e32 v2, s58, v2                                  // 000000006330: 6804043A
	v_and_b32_e32 v5, 31, v0                                   // 000000006334: 260A009F
	v_lshlrev_b32_e32 v5, 4, v5                                // 000000006338: 240A0A84
	v_lshrrev_b32_e32 v28, 5, v0                               // 00000000633C: 20380085
	s_mov_b32 s58, 0x800                                       // 000000006340: BEBA00FF 00000800
	v_mul_i32_i24_e32 v28, s58, v28                            // 000000006348: 0C38383A
	v_add_u32_e32 v5, v28, v5                                  // 00000000634C: 680A0B1C
	s_mov_b32 s59, 0x200                                       // 000000006350: BEBB00FF 00000200
	s_mul_i32 s58, s6, s59                                     // 000000006358: 923A3B06
	v_add_u32_e32 v5, s58, v5                                  // 00000000635C: 680A0A3A
	s_waitcnt lgkmcnt(0)                                       // 000000006360: BF8CC07F
	ds_read_b128 v[70:73], v2                                  // 000000006364: D9FE0000 46000002
	ds_read_b128 v[74:77], v2 offset:32                        // 00000000636C: D9FE0020 4A000002
	s_waitcnt lgkmcnt(1)                                       // 000000006374: BF8CC17F
	buffer_store_dwordx4 v[70:73], v5, s[8:11], 0 offen        // 000000006378: E07C1000 80024605
	v_add_u32_e32 v5, 0x1000, v5                               // 000000006380: 680A0AFF 00001000
	ds_read_b128 v[78:81], v2 offset:64                        // 000000006388: D9FE0040 4E000002
	s_waitcnt lgkmcnt(1)                                       // 000000006390: BF8CC17F
	buffer_store_dwordx4 v[74:77], v5, s[8:11], 0 offen        // 000000006394: E07C1000 80024A05
	v_add_u32_e32 v5, 0x1000, v5                               // 00000000639C: 680A0AFF 00001000
	ds_read_b128 v[82:85], v2 offset:96                        // 0000000063A4: D9FE0060 52000002
	s_waitcnt lgkmcnt(1)                                       // 0000000063AC: BF8CC17F
	buffer_store_dwordx4 v[78:81], v5, s[8:11], 0 offen        // 0000000063B0: E07C1000 80024E05
	v_add_u32_e32 v5, 0x1000, v5                               // 0000000063B8: 680A0AFF 00001000
	s_waitcnt lgkmcnt(0)                                       // 0000000063C0: BF8CC07F
	buffer_store_dwordx4 v[82:85], v5, s[8:11], 0 offen        // 0000000063C4: E07C1000 80025205
	v_add_u32_e32 v5, 0x1000, v5                               // 0000000063CC: 680A0AFF 00001000
	ds_read_b128 v[86:89], v2 offset:128                       // 0000000063D4: D9FE0080 56000002
	ds_read_b128 v[90:93], v2 offset:160                       // 0000000063DC: D9FE00A0 5A000002
	s_waitcnt lgkmcnt(1)                                       // 0000000063E4: BF8CC17F
	buffer_store_dwordx4 v[86:89], v5, s[8:11], 0 offen        // 0000000063E8: E07C1000 80025605
	v_add_u32_e32 v5, 0x1000, v5                               // 0000000063F0: 680A0AFF 00001000
	ds_read_b128 v[94:97], v2 offset:192                       // 0000000063F8: D9FE00C0 5E000002
	s_waitcnt lgkmcnt(1)                                       // 000000006400: BF8CC17F
	buffer_store_dwordx4 v[90:93], v5, s[8:11], 0 offen        // 000000006404: E07C1000 80025A05
	v_add_u32_e32 v5, 0x1000, v5                               // 00000000640C: 680A0AFF 00001000
	ds_read_b128 v[98:101], v2 offset:224                      // 000000006414: D9FE00E0 62000002
	s_waitcnt lgkmcnt(1)                                       // 00000000641C: BF8CC17F
	buffer_store_dwordx4 v[94:97], v5, s[8:11], 0 offen        // 000000006420: E07C1000 80025E05
	v_add_u32_e32 v5, 0x1000, v5                               // 000000006428: 680A0AFF 00001000
	s_waitcnt lgkmcnt(0)                                       // 000000006430: BF8CC07F
	buffer_store_dwordx4 v[98:101], v5, s[8:11], 0 offen       // 000000006434: E07C1000 80026205
	v_add_u32_e32 v5, 0x1000, v5                               // 00000000643C: 680A0AFF 00001000
	buffer_store_dword v1, v4, s[12:15], 0 offen               // 000000006444: E0701000 80030104
	s_branch label_4498                                        // 00000000644C: BF8200B0

0000000000006450 <label_41D8>:
	s_mul_i32 s58, 0x800, 16                                   // 000000006450: 923A90FF 00000800
	s_mul_i32 s59, 0x400, 16                                   // 000000006458: 923B90FF 00000400
	s_cmp_eq_u32 s67, 1                                        // 000000006460: BF068143
	s_cselect_b32 s75, s59, s58                                // 000000006464: 854B3A3B
	s_mul_i32 s94, s67, s75                                    // 000000006468: 925E4B43
	s_mul_i32 s93, s92, s75                                    // 00000000646C: 925D4B5C
	s_mul_i32 s58, s79, s93                                    // 000000006470: 923A5D4F
	s_mul_i32 s59, s79, s75                                    // 000000006474: 923B4B4F
	s_cmp_eq_u32 s67, 1                                        // 000000006478: BF068143
	s_cselect_b32 s58, s59, s58                                // 00000000647C: 853A3A3B
	s_add_u32 s8, s58, s8                                      // 000000006480: 8008083A
	s_addc_u32 s9, 0, s9                                       // 000000006484: 82090980
	s_mul_i32 s58, s93, s81                                    // 000000006488: 923A515D
	s_mov_b32 s10, s58                                         // 00000000648C: BE8A003A
	s_mul_i32 s58, s93, s6                                     // 000000006490: 923A065D
	v_lshrrev_b32_e32 v28, 5, v0                               // 000000006494: 20380085
	s_mov_b32 s59, 0x800                                       // 000000006498: BEBB00FF 00000800
	v_mul_i32_i24_e32 v28, s59, v28                            // 0000000064A0: 0C38383B
	v_and_b32_e32 v5, 31, v0                                   // 0000000064A4: 260A009F
	v_lshlrev_b32_e32 v5, 4, v5                                // 0000000064A8: 240A0A84
	v_add_u32_e32 v5, v5, v28                                  // 0000000064AC: 680A3905
	v_add_u32_e64 v5, v5, s58                                  // 0000000064B0: D1340005 00007505
	s_mul_i32 s58, s4, s75                                     // 0000000064B8: 923A4B04
	v_add_u32_e64 v5, v5, s58                                  // 0000000064BC: D1340005 00007505
	v_lshlrev_b32_e32 v2, 3, v0                                // 0000000064C4: 24040083
	s_mov_b32 s58, 0x1400                                      // 0000000064C8: BEBA00FF 00001400
	s_mul_i32 s58, s6, s58                                     // 0000000064D0: 923A3A06
	v_add_u32_e32 v2, s58, v2                                  // 0000000064D4: 6804043A
	v_cvt_pk_bf16_f32 v70, v70, v71                            // 0000000064D8: D2680046 00028F46
	v_cvt_pk_bf16_f32 v71, v72, v73                            // 0000000064E0: D2680047 00029348
	v_cvt_pk_bf16_f32 v72, v74, v75                            // 0000000064E8: D2680048 0002974A
	v_cvt_pk_bf16_f32 v73, v76, v77                            // 0000000064F0: D2680049 00029B4C
	v_cvt_pk_bf16_f32 v74, v78, v79                            // 0000000064F8: D268004A 00029F4E
	v_cvt_pk_bf16_f32 v75, v80, v81                            // 000000006500: D268004B 0002A350
	v_cvt_pk_bf16_f32 v76, v82, v83                            // 000000006508: D268004C 0002A752
	v_cvt_pk_bf16_f32 v77, v84, v85                            // 000000006510: D268004D 0002AB54
	v_cvt_pk_bf16_f32 v78, v86, v87                            // 000000006518: D268004E 0002AF56
	v_cvt_pk_bf16_f32 v79, v88, v89                            // 000000006520: D268004F 0002B358
	v_cvt_pk_bf16_f32 v80, v90, v91                            // 000000006528: D2680050 0002B75A
	v_cvt_pk_bf16_f32 v81, v92, v93                            // 000000006530: D2680051 0002BB5C
	v_cvt_pk_bf16_f32 v82, v94, v95                            // 000000006538: D2680052 0002BF5E
	v_cvt_pk_bf16_f32 v83, v96, v97                            // 000000006540: D2680053 0002C360
	v_cvt_pk_bf16_f32 v84, v98, v99                            // 000000006548: D2680054 0002C762
	v_cvt_pk_bf16_f32 v85, v100, v101                          // 000000006550: D2680055 0002CB64
	ds_write_b64 v2, v[70:71]                                  // 000000006558: D89A0000 00004602
	s_mov_b32 s58, 0x208                                       // 000000006560: BEBA00FF 00000208
	v_add_u32_e32 v2, s58, v2                                  // 000000006568: 6804043A
	ds_write_b64 v2, v[72:73]                                  // 00000000656C: D89A0000 00004802
	s_mov_b32 s58, 0x208                                       // 000000006574: BEBA00FF 00000208
	v_add_u32_e32 v2, s58, v2                                  // 00000000657C: 6804043A
	ds_write_b64 v2, v[74:75]                                  // 000000006580: D89A0000 00004A02
	s_mov_b32 s58, 0x208                                       // 000000006588: BEBA00FF 00000208
	v_add_u32_e32 v2, s58, v2                                  // 000000006590: 6804043A
	ds_write_b64 v2, v[76:77]                                  // 000000006594: D89A0000 00004C02
	s_mov_b32 s58, 0x208                                       // 00000000659C: BEBA00FF 00000208
	v_add_u32_e32 v2, s58, v2                                  // 0000000065A4: 6804043A
	ds_write_b64 v2, v[78:79]                                  // 0000000065A8: D89A0000 00004E02
	s_mov_b32 s58, 0x208                                       // 0000000065B0: BEBA00FF 00000208
	v_add_u32_e32 v2, s58, v2                                  // 0000000065B8: 6804043A
	ds_write_b64 v2, v[80:81]                                  // 0000000065BC: D89A0000 00005002
	s_mov_b32 s58, 0x208                                       // 0000000065C4: BEBA00FF 00000208
	v_add_u32_e32 v2, s58, v2                                  // 0000000065CC: 6804043A
	ds_write_b64 v2, v[82:83]                                  // 0000000065D0: D89A0000 00005202
	s_mov_b32 s58, 0x208                                       // 0000000065D8: BEBA00FF 00000208
	v_add_u32_e32 v2, s58, v2                                  // 0000000065E0: 6804043A
	ds_write_b64 v2, v[84:85]                                  // 0000000065E4: D89A0000 00005402
	s_mov_b32 s58, 0x208                                       // 0000000065EC: BEBA00FF 00000208
	v_add_u32_e32 v2, s58, v2                                  // 0000000065F4: 6804043A
	v_and_b32_e32 v28, 1, v0                                   // 0000000065F8: 26380081
	s_mov_b32 s58, 0x100                                       // 0000000065FC: BEBA00FF 00000100
	v_mul_i32_i24_e32 v28, s58, v28                            // 000000006604: 0C38383A
	v_and_b32_e32 v29, 15, v0                                  // 000000006608: 263A008F
	v_lshrrev_b32_e32 v29, 1, v29                              // 00000000660C: 203A3A81
	s_mov_b32 s58, 0x208                                       // 000000006610: BEBA00FF 00000208
	v_mul_i32_i24_e32 v29, s58, v29                            // 000000006618: 0C3A3A3A
	v_lshrrev_b32_e32 v30, 4, v0                               // 00000000661C: 203C0084
	s_mov_b32 s58, 8                                           // 000000006620: BEBA0088
	v_mul_i32_i24_e32 v30, s58, v30                            // 000000006624: 0C3C3C3A
	v_add_u32_e32 v2, v28, v29                                 // 000000006628: 68043B1C
	v_add_u32_e32 v2, v30, v2                                  // 00000000662C: 6804051E
	s_mov_b32 s58, 0x80                                        // 000000006630: BEBA00FF 00000080
	v_add_u32_e32 v3, s58, v2                                  // 000000006638: 6806043A
	s_mov_b32 s59, 0x1400                                      // 00000000663C: BEBB00FF 00001400
	s_mul_i32 s58, s59, s6                                     // 000000006644: 923A063B
	v_add_u32_e32 v2, s58, v2                                  // 000000006648: 6804043A
	v_add_u32_e32 v3, s58, v3                                  // 00000000664C: 6806063A
	s_mov_b32 s58, 0x100                                       // 000000006650: BEBA00FF 00000100
	s_mul_i32 s58, s6, s58                                     // 000000006658: 923A3A06
	v_lshrrev_b32_e32 v28, 4, v0                               // 00000000665C: 20380084
	s_mov_b32 s59, 0x400                                       // 000000006660: BEBB00FF 00000400
	v_mul_i32_i24_e32 v28, s59, v28                            // 000000006668: 0C38383B
	v_and_b32_e32 v5, 15, v0                                   // 00000000666C: 260A008F
	v_lshlrev_b32_e32 v5, 4, v5                                // 000000006670: 240A0A84
	v_add_u32_e32 v5, s58, v5                                  // 000000006674: 680A0A3A
	v_add_u32_e32 v5, v28, v5                                  // 000000006678: 680A0B1C
	s_waitcnt lgkmcnt(0)                                       // 00000000667C: BF8CC07F
	ds_read_b64 v[70:71], v2                                   // 000000006680: D8EC0000 46000002
	ds_read_b64 v[72:73], v3                                   // 000000006688: D8EC0000 48000003
	ds_read_b64 v[74:75], v2 offset:32                         // 000000006690: D8EC0020 4A000002
	ds_read_b64 v[76:77], v3 offset:32                         // 000000006698: D8EC0020 4C000003
	s_waitcnt lgkmcnt(2)                                       // 0000000066A0: BF8CC27F
	buffer_store_dwordx4 v[70:73], v5, s[8:11], 0 offen        // 0000000066A4: E07C1000 80024605
	v_add_u32_e32 v5, 0x1000, v5                               // 0000000066AC: 680A0AFF 00001000
	ds_read_b64 v[78:79], v2 offset:64                         // 0000000066B4: D8EC0040 4E000002
	ds_read_b64 v[80:81], v3 offset:64                         // 0000000066BC: D8EC0040 50000003
	s_waitcnt lgkmcnt(2)                                       // 0000000066C4: BF8CC27F
	buffer_store_dwordx4 v[74:77], v5, s[8:11], 0 offen        // 0000000066C8: E07C1000 80024A05
	v_add_u32_e32 v5, 0x1000, v5                               // 0000000066D0: 680A0AFF 00001000
	ds_read_b64 v[82:83], v2 offset:96                         // 0000000066D8: D8EC0060 52000002
	ds_read_b64 v[84:85], v3 offset:96                         // 0000000066E0: D8EC0060 54000003
	s_waitcnt lgkmcnt(2)                                       // 0000000066E8: BF8CC27F
	buffer_store_dwordx4 v[78:81], v5, s[8:11], 0 offen        // 0000000066EC: E07C1000 80024E05
	v_add_u32_e32 v5, 0x1000, v5                               // 0000000066F4: 680A0AFF 00001000
	s_waitcnt lgkmcnt(0)                                       // 0000000066FC: BF8CC07F
	buffer_store_dwordx4 v[82:85], v5, s[8:11], 0 offen        // 000000006700: E07C1000 80025205
	v_add_u32_e32 v5, 0x1000, v5                               // 000000006708: 680A0AFF 00001000

0000000000006710 <label_4498>:
	s_waitcnt vmcnt(0) expcnt(0) lgkmcnt(0)                    // 000000006710: BF8C0000
	s_endpgm                                                   // 000000006714: BF810000
